;; amdgpu-corpus repo=ROCm/rocFFT kind=compiled arch=gfx1100 opt=O3
	.text
	.amdgcn_target "amdgcn-amd-amdhsa--gfx1100"
	.amdhsa_code_object_version 6
	.protected	bluestein_single_fwd_len2916_dim1_dp_op_CI_CI ; -- Begin function bluestein_single_fwd_len2916_dim1_dp_op_CI_CI
	.globl	bluestein_single_fwd_len2916_dim1_dp_op_CI_CI
	.p2align	8
	.type	bluestein_single_fwd_len2916_dim1_dp_op_CI_CI,@function
bluestein_single_fwd_len2916_dim1_dp_op_CI_CI: ; @bluestein_single_fwd_len2916_dim1_dp_op_CI_CI
; %bb.0:
	s_load_b128 s[16:19], s[0:1], 0x28
	v_mul_u32_u24_e32 v1, 0x10e, v0
	s_mov_b32 s2, exec_lo
	v_mov_b32_e32 v3, 0
	s_delay_alu instid0(VALU_DEP_2) | instskip(NEXT) | instid1(VALU_DEP_1)
	v_lshrrev_b32_e32 v1, 16, v1
	v_add_nc_u32_e32 v2, s15, v1
	s_waitcnt lgkmcnt(0)
	s_delay_alu instid0(VALU_DEP_1)
	v_cmpx_gt_u64_e64 s[16:17], v[2:3]
	s_cbranch_execz .LBB0_2
; %bb.1:
	s_clause 0x1
	s_load_b128 s[4:7], s[0:1], 0x18
	s_load_b128 s[8:11], s[0:1], 0x0
	v_mul_lo_u16 v1, 0xf3, v1
	s_load_b64 s[0:1], s[0:1], 0x38
	v_mov_b32_e32 v6, v2
	s_delay_alu instid0(VALU_DEP_2)
	v_sub_nc_u16 v205, v0, v1
	scratch_store_b64 off, v[6:7], off      ; 8-byte Folded Spill
	v_and_b32_e32 v137, 0xffff, v205
	s_waitcnt lgkmcnt(0)
	s_load_b128 s[12:15], s[4:5], 0x0
	s_waitcnt lgkmcnt(0)
	v_mad_u64_u32 v[0:1], null, s14, v2, 0
	v_mad_u64_u32 v[2:3], null, s12, v137, 0
	s_mul_hi_u32 s3, s12, 0x1e60
	s_mul_i32 s4, s12, 0x1e60
	s_delay_alu instid0(VALU_DEP_1) | instskip(NEXT) | instid1(VALU_DEP_1)
	v_mad_u64_u32 v[4:5], null, s15, v6, v[1:2]
	v_dual_mov_b32 v1, v4 :: v_dual_lshlrev_b32 v218, 4, v137
	s_delay_alu instid0(VALU_DEP_3) | instskip(NEXT) | instid1(VALU_DEP_2)
	v_mad_u64_u32 v[5:6], null, s13, v137, v[3:4]
	v_add_co_u32 v219, s2, s8, v218
	s_delay_alu instid0(VALU_DEP_1) | instskip(NEXT) | instid1(VALU_DEP_4)
	v_add_co_ci_u32_e64 v220, null, s9, 0, s2
	v_lshlrev_b64 v[0:1], 4, v[0:1]
	s_delay_alu instid0(VALU_DEP_3) | instskip(SKIP_1) | instid1(VALU_DEP_4)
	v_add_co_u32 v4, vcc_lo, 0x1000, v219
	v_mov_b32_e32 v3, v5
	v_add_co_ci_u32_e32 v5, vcc_lo, 0, v220, vcc_lo
	s_delay_alu instid0(VALU_DEP_4) | instskip(NEXT) | instid1(VALU_DEP_3)
	v_add_co_u32 v0, vcc_lo, s18, v0
	v_lshlrev_b64 v[2:3], 4, v[2:3]
	v_add_co_ci_u32_e32 v1, vcc_lo, s19, v1, vcc_lo
	s_mul_i32 s2, s13, 0x1e60
	s_delay_alu instid0(SALU_CYCLE_1) | instskip(NEXT) | instid1(VALU_DEP_2)
	s_add_i32 s3, s3, s2
	v_add_co_u32 v0, vcc_lo, v0, v2
	s_delay_alu instid0(VALU_DEP_2) | instskip(SKIP_1) | instid1(VALU_DEP_2)
	v_add_co_ci_u32_e32 v1, vcc_lo, v1, v3, vcc_lo
	s_mul_i32 s2, s13, 0xffff7750
	v_add_co_u32 v2, vcc_lo, v0, s4
	s_delay_alu instid0(VALU_DEP_2)
	v_add_co_ci_u32_e32 v3, vcc_lo, s3, v1, vcc_lo
	global_load_b128 v[16:19], v218, s[8:9]
	global_load_b128 v[8:11], v[0:1], off
	global_load_b128 v[20:23], v[4:5], off offset:3680
	global_load_b128 v[12:15], v[2:3], off
	s_sub_i32 s2, s2, s12
	s_waitcnt vmcnt(3)
	v_dual_mov_b32 v27, v19 :: v_dual_mov_b32 v24, v16
	s_waitcnt vmcnt(2)
	v_mul_f64 v[0:1], v[10:11], v[18:19]
	v_mul_f64 v[4:5], v[8:9], v[18:19]
	v_dual_mov_b32 v26, v18 :: v_dual_mov_b32 v25, v17
	s_waitcnt vmcnt(0)
	v_mul_f64 v[6:7], v[14:15], v[22:23]
	v_mul_f64 v[16:17], v[12:13], v[22:23]
	v_add_co_u32 v18, vcc_lo, 0x3000, v219
	v_add_co_ci_u32_e32 v19, vcc_lo, 0, v220, vcc_lo
	v_add_co_u32 v2, vcc_lo, v2, s4
	v_add_co_ci_u32_e32 v3, vcc_lo, s3, v3, vcc_lo
	v_fma_f64 v[48:49], v[8:9], v[24:25], v[0:1]
	v_fma_f64 v[50:51], v[10:11], v[24:25], -v[4:5]
	global_load_b128 v[8:11], v[18:19], off offset:3264
	scratch_store_b128 off, v[20:23], off offset:8 ; 16-byte Folded Spill
	v_fma_f64 v[52:53], v[12:13], v[20:21], v[6:7]
	v_fma_f64 v[54:55], v[14:15], v[20:21], -v[16:17]
	global_load_b128 v[12:15], v[2:3], off
	s_waitcnt vmcnt(1)
	scratch_store_b128 off, v[8:11], off offset:24 ; 16-byte Folded Spill
	s_waitcnt vmcnt(0)
	v_mul_f64 v[0:1], v[14:15], v[10:11]
	v_mul_f64 v[4:5], v[12:13], v[10:11]
	s_delay_alu instid0(VALU_DEP_2)
	v_fma_f64 v[56:57], v[12:13], v[8:9], v[0:1]
	v_add_co_u32 v0, vcc_lo, 0x5000, v219
	v_add_co_ci_u32_e32 v1, vcc_lo, 0, v220, vcc_lo
	v_add_co_u32 v2, vcc_lo, v2, s4
	v_add_co_ci_u32_e32 v3, vcc_lo, s3, v3, vcc_lo
	v_fma_f64 v[58:59], v[14:15], v[8:9], -v[4:5]
	global_load_b128 v[6:9], v[0:1], off offset:2848
	scratch_store_b128 off, v[24:27], off offset:120 ; 16-byte Folded Spill
	global_load_b128 v[16:19], v[2:3], off
	s_waitcnt vmcnt(1)
	scratch_store_b128 off, v[6:9], off offset:40 ; 16-byte Folded Spill
	s_waitcnt vmcnt(0)
	v_mul_f64 v[0:1], v[18:19], v[8:9]
	v_mul_f64 v[4:5], v[16:17], v[8:9]
	s_delay_alu instid0(VALU_DEP_2)
	v_fma_f64 v[60:61], v[16:17], v[6:7], v[0:1]
	v_add_co_u32 v0, vcc_lo, v2, s4
	v_add_co_ci_u32_e32 v1, vcc_lo, s3, v3, vcc_lo
	v_add_co_u32 v2, vcc_lo, 0x7000, v219
	v_add_co_ci_u32_e32 v3, vcc_lo, 0, v220, vcc_lo
	v_fma_f64 v[62:63], v[18:19], v[6:7], -v[4:5]
	global_load_b128 v[20:23], v[0:1], off
	v_add_co_u32 v0, vcc_lo, v0, s4
	global_load_b128 v[6:9], v[2:3], off offset:2432
	v_add_co_ci_u32_e32 v1, vcc_lo, s3, v1, vcc_lo
	global_load_b128 v[24:27], v[0:1], off
	s_waitcnt vmcnt(1)
	v_mul_f64 v[2:3], v[22:23], v[8:9]
	v_mul_f64 v[4:5], v[20:21], v[8:9]
	scratch_store_b128 off, v[6:9], off offset:56 ; 16-byte Folded Spill
	v_fma_f64 v[64:65], v[20:21], v[6:7], v[2:3]
	v_add_co_u32 v2, vcc_lo, 0x9000, v219
	v_add_co_ci_u32_e32 v3, vcc_lo, 0, v220, vcc_lo
	v_fma_f64 v[66:67], v[22:23], v[6:7], -v[4:5]
	global_load_b128 v[6:9], v[2:3], off offset:2016
	s_waitcnt vmcnt(0)
	v_mul_f64 v[2:3], v[26:27], v[8:9]
	v_mul_f64 v[4:5], v[24:25], v[8:9]
	scratch_store_b128 off, v[6:9], off offset:72 ; 16-byte Folded Spill
	v_fma_f64 v[68:69], v[24:25], v[6:7], v[2:3]
	v_mad_u64_u32 v[2:3], null, 0xffff7750, s12, v[0:1]
	v_fma_f64 v[70:71], v[26:27], v[6:7], -v[4:5]
	global_load_b128 v[6:9], v218, s[8:9] offset:3888
	s_mov_b32 s9, 0xbfebb67a
	v_add_co_u32 v192, s12, 0xf3, v137
	v_and_b32_e32 v140, 0xff, v205
	v_add_nc_u32_e32 v3, s2, v3
	s_delay_alu instid0(VALU_DEP_3)
	v_and_b32_e32 v112, 0xffff, v192
	global_load_b128 v[28:31], v[2:3], off
	s_waitcnt vmcnt(1)
	scratch_store_b128 off, v[6:9], off offset:88 ; 16-byte Folded Spill
	s_waitcnt vmcnt(0)
	v_mul_f64 v[0:1], v[30:31], v[8:9]
	v_mul_f64 v[4:5], v[28:29], v[8:9]
	s_delay_alu instid0(VALU_DEP_2)
	v_fma_f64 v[72:73], v[28:29], v[6:7], v[0:1]
	v_add_co_u32 v0, vcc_lo, v2, s4
	v_add_co_ci_u32_e32 v1, vcc_lo, s3, v3, vcc_lo
	v_add_co_u32 v2, vcc_lo, 0x2000, v219
	v_add_co_ci_u32_e32 v3, vcc_lo, 0, v220, vcc_lo
	v_fma_f64 v[74:75], v[30:31], v[6:7], -v[4:5]
	global_load_b128 v[32:35], v[0:1], off
	v_add_co_u32 v0, vcc_lo, v0, s4
	global_load_b128 v[6:9], v[2:3], off offset:3472
	v_add_co_ci_u32_e32 v1, vcc_lo, s3, v1, vcc_lo
	s_waitcnt vmcnt(0)
	v_mul_f64 v[2:3], v[34:35], v[8:9]
	scratch_store_b128 off, v[6:9], off offset:104 ; 16-byte Folded Spill
	v_mul_f64 v[4:5], v[32:33], v[8:9]
	v_fma_f64 v[76:77], v[32:33], v[6:7], v[2:3]
	v_add_co_u32 v2, vcc_lo, 0x4000, v219
	v_add_co_ci_u32_e32 v3, vcc_lo, 0, v220, vcc_lo
	global_load_b128 v[229:232], v[2:3], off offset:3056
	global_load_b128 v[36:39], v[0:1], off
	v_add_co_u32 v0, vcc_lo, v0, s4
	v_add_co_ci_u32_e32 v1, vcc_lo, s3, v1, vcc_lo
	v_fma_f64 v[78:79], v[34:35], v[6:7], -v[4:5]
	s_waitcnt vmcnt(0)
	v_mul_f64 v[2:3], v[38:39], v[231:232]
	v_mul_f64 v[4:5], v[36:37], v[231:232]
	s_delay_alu instid0(VALU_DEP_2)
	v_fma_f64 v[80:81], v[36:37], v[229:230], v[2:3]
	v_add_co_u32 v2, vcc_lo, 0x6000, v219
	v_add_co_ci_u32_e32 v3, vcc_lo, 0, v220, vcc_lo
	global_load_b128 v[225:228], v[2:3], off offset:2640
	global_load_b128 v[40:43], v[0:1], off
	v_fma_f64 v[82:83], v[38:39], v[229:230], -v[4:5]
	v_add_co_u32 v0, vcc_lo, v0, s4
	v_add_co_ci_u32_e32 v1, vcc_lo, s3, v1, vcc_lo
	s_waitcnt vmcnt(0)
	v_mul_f64 v[2:3], v[42:43], v[227:228]
	v_mul_f64 v[4:5], v[40:41], v[227:228]
	s_delay_alu instid0(VALU_DEP_2) | instskip(SKIP_2) | instid1(VALU_DEP_4)
	v_fma_f64 v[84:85], v[40:41], v[225:226], v[2:3]
	v_add_co_u32 v2, vcc_lo, 0x8000, v219
	v_add_co_ci_u32_e32 v3, vcc_lo, 0, v220, vcc_lo
	v_fma_f64 v[86:87], v[42:43], v[225:226], -v[4:5]
	global_load_b128 v[40:43], v[2:3], off offset:2224
	global_load_b128 v[44:47], v[0:1], off
	v_add_co_u32 v0, vcc_lo, v0, s4
	v_add_co_ci_u32_e32 v1, vcc_lo, s3, v1, vcc_lo
	s_mov_b32 s2, 0xe8584caa
	s_mov_b32 s3, 0x3febb67a
	;; [unrolled: 1-line block ×3, first 2 shown]
	s_waitcnt vmcnt(0)
	v_mul_f64 v[2:3], v[46:47], v[42:43]
	v_mul_f64 v[4:5], v[44:45], v[42:43]
	s_delay_alu instid0(VALU_DEP_2) | instskip(SKIP_2) | instid1(VALU_DEP_4)
	v_fma_f64 v[88:89], v[44:45], v[40:41], v[2:3]
	v_add_co_u32 v2, vcc_lo, 0xa000, v219
	v_add_co_ci_u32_e32 v3, vcc_lo, 0, v220, vcc_lo
	v_fma_f64 v[90:91], v[46:47], v[40:41], -v[4:5]
	global_load_b128 v[44:47], v[2:3], off offset:1808
	global_load_b128 v[92:95], v[0:1], off
	s_waitcnt vmcnt(0)
	v_mul_f64 v[0:1], v[94:95], v[46:47]
	v_mul_f64 v[2:3], v[92:93], v[46:47]
	s_delay_alu instid0(VALU_DEP_2) | instskip(NEXT) | instid1(VALU_DEP_2)
	v_fma_f64 v[92:93], v[92:93], v[44:45], v[0:1]
	v_fma_f64 v[94:95], v[94:95], v[44:45], -v[2:3]
	ds_store_b128 v218, v[48:51]
	ds_store_b128 v218, v[52:55] offset:7776
	ds_store_b128 v218, v[56:59] offset:15552
	;; [unrolled: 1-line block ×11, first 2 shown]
	s_load_b128 s[4:7], s[6:7], 0x0
	s_waitcnt lgkmcnt(0)
	s_waitcnt_vscnt null, 0x0
	s_barrier
	buffer_gl0_inv
	ds_load_b128 v[48:51], v218 offset:15552
	ds_load_b128 v[52:55], v218
	ds_load_b128 v[56:59], v218 offset:31104
	s_waitcnt lgkmcnt(1)
	v_add_f64 v[0:1], v[52:53], v[48:49]
	v_add_f64 v[2:3], v[54:55], v[50:51]
	s_waitcnt lgkmcnt(0)
	v_add_f64 v[4:5], v[48:49], v[56:57]
	v_add_f64 v[6:7], v[50:51], v[58:59]
	v_add_f64 v[8:9], v[50:51], -v[58:59]
	v_add_f64 v[10:11], v[48:49], -v[56:57]
	v_add_f64 v[0:1], v[0:1], v[56:57]
	v_add_f64 v[2:3], v[2:3], v[58:59]
	ds_load_b128 v[48:51], v218 offset:23328
	ds_load_b128 v[56:59], v218 offset:7776
	;; [unrolled: 1-line block ×3, first 2 shown]
	v_fma_f64 v[4:5], v[4:5], -0.5, v[52:53]
	v_fma_f64 v[6:7], v[6:7], -0.5, v[54:55]
	s_waitcnt lgkmcnt(1)
	v_add_f64 v[12:13], v[56:57], v[48:49]
	v_add_f64 v[14:15], v[58:59], v[50:51]
	s_waitcnt lgkmcnt(0)
	v_add_f64 v[16:17], v[50:51], v[62:63]
	v_add_f64 v[18:19], v[48:49], v[60:61]
	v_add_f64 v[20:21], v[50:51], -v[62:63]
	v_add_f64 v[22:23], v[48:49], -v[60:61]
	v_add_f64 v[12:13], v[12:13], v[60:61]
	v_add_f64 v[14:15], v[14:15], v[62:63]
	ds_load_b128 v[48:51], v218 offset:19440
	ds_load_b128 v[60:63], v218 offset:3888
	;; [unrolled: 1-line block ×3, first 2 shown]
	v_fma_f64 v[16:17], v[16:17], -0.5, v[58:59]
	v_fma_f64 v[18:19], v[18:19], -0.5, v[56:57]
	s_waitcnt lgkmcnt(1)
	v_add_f64 v[24:25], v[60:61], v[48:49]
	v_add_f64 v[26:27], v[62:63], v[50:51]
	s_waitcnt lgkmcnt(0)
	v_add_f64 v[28:29], v[48:49], v[64:65]
	v_add_f64 v[30:31], v[50:51], v[66:67]
	v_add_f64 v[32:33], v[50:51], -v[66:67]
	v_add_f64 v[34:35], v[48:49], -v[64:65]
	;; [unrolled: 1-line block ×4, first 2 shown]
	v_add_f64 v[24:25], v[24:25], v[64:65]
	v_add_f64 v[26:27], v[26:27], v[66:67]
	ds_load_b128 v[48:51], v218 offset:27216
	ds_load_b128 v[64:67], v218 offset:11664
	;; [unrolled: 1-line block ×3, first 2 shown]
	v_fma_f64 v[30:31], v[30:31], -0.5, v[62:63]
	v_fma_f64 v[28:29], v[28:29], -0.5, v[60:61]
	s_waitcnt lgkmcnt(0)
	s_barrier
	buffer_gl0_inv
	v_add_f64 v[72:73], v[64:65], v[48:49]
	v_add_f64 v[78:79], v[48:49], v[68:69]
	v_add_f64 v[90:91], v[48:49], -v[68:69]
	v_add_f64 v[48:49], v[0:1], v[12:13]
	v_fma_f64 v[0:1], v[22:23], s[8:9], v[16:17]
	v_add_f64 v[74:75], v[66:67], v[50:51]
	v_add_f64 v[76:77], v[50:51], v[70:71]
	v_add_f64 v[88:89], v[50:51], -v[70:71]
	v_add_f64 v[50:51], v[2:3], v[14:15]
	v_fma_f64 v[2:3], v[20:21], s[2:3], v[18:19]
	v_fma_f64 v[14:15], v[10:11], s[8:9], v[6:7]
	;; [unrolled: 1-line block ×3, first 2 shown]
	v_add_f64 v[68:69], v[72:73], v[68:69]
	v_fma_f64 v[94:95], v[78:79], -0.5, v[64:65]
	v_mul_f64 v[12:13], v[0:1], s[2:3]
	v_add_f64 v[70:71], v[74:75], v[70:71]
	v_fma_f64 v[92:93], v[76:77], -0.5, v[66:67]
	v_add_f64 v[56:57], v[24:25], v[68:69]
	v_add_f64 v[60:61], v[24:25], -v[68:69]
	v_fma_f64 v[12:13], v[2:3], 0.5, v[12:13]
	v_mul_f64 v[2:3], v[2:3], s[8:9]
	v_add_f64 v[58:59], v[26:27], v[70:71]
	v_add_f64 v[62:63], v[26:27], -v[70:71]
	s_delay_alu instid0(VALU_DEP_3) | instskip(SKIP_2) | instid1(VALU_DEP_3)
	v_fma_f64 v[0:1], v[0:1], 0.5, v[2:3]
	v_fma_f64 v[2:3], v[8:9], s[2:3], v[4:5]
	v_fma_f64 v[4:5], v[8:9], s[8:9], v[4:5]
	v_add_f64 v[66:67], v[14:15], v[0:1]
	v_add_f64 v[70:71], v[14:15], -v[0:1]
	v_fma_f64 v[0:1], v[20:21], s[8:9], v[18:19]
	v_add_f64 v[64:65], v[2:3], v[12:13]
	v_add_f64 v[68:69], v[2:3], -v[12:13]
	v_fma_f64 v[2:3], v[22:23], s[2:3], v[16:17]
	s_delay_alu instid0(VALU_DEP_4) | instskip(NEXT) | instid1(VALU_DEP_1)
	v_mul_f64 v[8:9], v[0:1], -0.5
	v_fma_f64 v[8:9], v[2:3], s[2:3], v[8:9]
	v_mul_f64 v[2:3], v[2:3], -0.5
	s_delay_alu instid0(VALU_DEP_2) | instskip(NEXT) | instid1(VALU_DEP_2)
	v_add_f64 v[72:73], v[4:5], v[8:9]
	v_fma_f64 v[0:1], v[0:1], s[8:9], v[2:3]
	v_add_f64 v[76:77], v[4:5], -v[8:9]
	v_fma_f64 v[2:3], v[88:89], s[2:3], v[94:95]
	s_delay_alu instid0(VALU_DEP_3) | instskip(SKIP_3) | instid1(VALU_DEP_2)
	v_add_f64 v[74:75], v[6:7], v[0:1]
	v_add_f64 v[78:79], v[6:7], -v[0:1]
	v_fma_f64 v[0:1], v[90:91], s[8:9], v[92:93]
	v_fma_f64 v[6:7], v[34:35], s[8:9], v[30:31]
	v_mul_f64 v[4:5], v[0:1], s[2:3]
	s_delay_alu instid0(VALU_DEP_1) | instskip(SKIP_1) | instid1(VALU_DEP_1)
	v_fma_f64 v[4:5], v[2:3], 0.5, v[4:5]
	v_mul_f64 v[2:3], v[2:3], s[8:9]
	v_fma_f64 v[0:1], v[0:1], 0.5, v[2:3]
	v_fma_f64 v[2:3], v[32:33], s[2:3], v[28:29]
	s_delay_alu instid0(VALU_DEP_2) | instskip(SKIP_2) | instid1(VALU_DEP_4)
	v_add_f64 v[82:83], v[6:7], v[0:1]
	v_add_f64 v[86:87], v[6:7], -v[0:1]
	v_fma_f64 v[0:1], v[88:89], s[8:9], v[94:95]
	v_add_f64 v[80:81], v[2:3], v[4:5]
	v_add_f64 v[84:85], v[2:3], -v[4:5]
	v_fma_f64 v[2:3], v[90:91], s[2:3], v[92:93]
	v_fma_f64 v[6:7], v[34:35], s[2:3], v[30:31]
	;; [unrolled: 1-line block ×3, first 2 shown]
	v_mul_f64 v[8:9], v[0:1], -0.5
	s_delay_alu instid0(VALU_DEP_1) | instskip(SKIP_1) | instid1(VALU_DEP_2)
	v_fma_f64 v[8:9], v[2:3], s[2:3], v[8:9]
	v_mul_f64 v[2:3], v[2:3], -0.5
	v_add_f64 v[88:89], v[4:5], v[8:9]
	s_delay_alu instid0(VALU_DEP_2) | instskip(SKIP_1) | instid1(VALU_DEP_2)
	v_fma_f64 v[0:1], v[0:1], s[8:9], v[2:3]
	v_add_f64 v[92:93], v[4:5], -v[8:9]
	v_add_f64 v[90:91], v[6:7], v[0:1]
	v_add_f64 v[94:95], v[6:7], -v[0:1]
	v_mul_lo_u16 v0, v205, 6
	s_delay_alu instid0(VALU_DEP_1) | instskip(NEXT) | instid1(VALU_DEP_1)
	v_and_b32_e32 v0, 0xffff, v0
	v_lshlrev_b32_e32 v222, 4, v0
	v_mul_u32_u24_e32 v0, 6, v192
	ds_store_b128 v222, v[48:51]
	ds_store_b128 v222, v[52:55] offset:48
	ds_store_b128 v222, v[64:67] offset:16
	;; [unrolled: 1-line block ×5, first 2 shown]
	v_lshlrev_b32_e32 v221, 4, v0
	v_mul_lo_u16 v0, 0xab, v140
	ds_store_b128 v221, v[56:59]
	ds_store_b128 v221, v[80:83] offset:16
	ds_store_b128 v221, v[88:91] offset:32
	;; [unrolled: 1-line block ×5, first 2 shown]
	v_lshrrev_b16 v114, 10, v0
	s_waitcnt lgkmcnt(0)
	s_barrier
	buffer_gl0_inv
	ds_load_b128 v[52:55], v218 offset:23328
	ds_load_b128 v[76:79], v218 offset:15552
	v_mul_lo_u16 v0, v114, 6
	ds_load_b128 v[64:67], v218 offset:42768
	ds_load_b128 v[125:128], v218 offset:3888
	;; [unrolled: 1-line block ×4, first 2 shown]
	v_sub_nc_u16 v0, v205, v0
	s_delay_alu instid0(VALU_DEP_1) | instskip(NEXT) | instid1(VALU_DEP_1)
	v_and_b32_e32 v113, 0xff, v0
	v_mad_u64_u32 v[0:1], null, 0x50, v113, s[10:11]
	s_clause 0x3
	global_load_b128 v[48:51], v[0:1], off offset:32
	global_load_b128 v[68:71], v[0:1], off
	global_load_b128 v[60:63], v[0:1], off offset:64
	global_load_b128 v[84:87], v[0:1], off offset:48
	s_waitcnt vmcnt(3) lgkmcnt(5)
	v_mul_f64 v[2:3], v[54:55], v[50:51]
	s_delay_alu instid0(VALU_DEP_1) | instskip(SKIP_1) | instid1(VALU_DEP_1)
	v_fma_f64 v[98:99], v[52:53], v[48:49], -v[2:3]
	v_mul_f64 v[2:3], v[52:53], v[50:51]
	v_fma_f64 v[96:97], v[54:55], v[48:49], v[2:3]
	ds_load_b128 v[52:55], v218 offset:38880
	s_waitcnt vmcnt(1) lgkmcnt(0)
	v_mul_f64 v[2:3], v[52:53], v[62:63]
	s_delay_alu instid0(VALU_DEP_1) | instskip(SKIP_1) | instid1(VALU_DEP_1)
	v_fma_f64 v[100:101], v[54:55], v[60:61], v[2:3]
	v_mul_f64 v[2:3], v[54:55], v[62:63]
	v_fma_f64 v[102:103], v[52:53], v[60:61], -v[2:3]
	v_mul_u32_u24_e32 v2, 0xaaab, v112
	ds_load_b128 v[52:55], v218 offset:27216
	v_lshrrev_b32_e32 v115, 18, v2
	s_delay_alu instid0(VALU_DEP_1) | instskip(NEXT) | instid1(VALU_DEP_1)
	v_mul_lo_u16 v2, v115, 6
	v_sub_nc_u16 v116, v192, v2
	s_delay_alu instid0(VALU_DEP_1) | instskip(NEXT) | instid1(VALU_DEP_1)
	v_mul_lo_u16 v2, 0x50, v116
	v_and_b32_e32 v2, 0xffff, v2
	s_delay_alu instid0(VALU_DEP_1) | instskip(NEXT) | instid1(VALU_DEP_1)
	v_add_co_u32 v2, s13, s10, v2
	v_add_co_ci_u32_e64 v3, null, s11, 0, s13
	s_clause 0x1
	global_load_b128 v[56:59], v[2:3], off offset:32
	global_load_b128 v[80:83], v[2:3], off offset:16
	s_waitcnt vmcnt(1) lgkmcnt(0)
	v_mul_f64 v[4:5], v[54:55], v[58:59]
	s_delay_alu instid0(VALU_DEP_1) | instskip(SKIP_1) | instid1(VALU_DEP_1)
	v_fma_f64 v[90:91], v[52:53], v[56:57], -v[4:5]
	v_mul_f64 v[4:5], v[52:53], v[58:59]
	v_fma_f64 v[88:89], v[54:55], v[56:57], v[4:5]
	global_load_b128 v[52:55], v[2:3], off offset:64
	s_waitcnt vmcnt(0)
	v_mul_f64 v[4:5], v[64:65], v[54:55]
	s_delay_alu instid0(VALU_DEP_1) | instskip(SKIP_1) | instid1(VALU_DEP_1)
	v_fma_f64 v[92:93], v[66:67], v[52:53], v[4:5]
	v_mul_f64 v[4:5], v[66:67], v[54:55]
	v_fma_f64 v[94:95], v[64:65], v[52:53], -v[4:5]
	ds_load_b128 v[64:67], v218 offset:7776
	s_waitcnt lgkmcnt(0)
	v_mul_f64 v[4:5], v[66:67], v[70:71]
	s_delay_alu instid0(VALU_DEP_1) | instskip(SKIP_1) | instid1(VALU_DEP_2)
	v_fma_f64 v[106:107], v[64:65], v[68:69], -v[4:5]
	v_mul_f64 v[4:5], v[64:65], v[70:71]
	v_add_f64 v[24:25], v[106:107], v[98:99]
	s_delay_alu instid0(VALU_DEP_2) | instskip(SKIP_3) | instid1(VALU_DEP_1)
	v_fma_f64 v[110:111], v[66:67], v[68:69], v[4:5]
	global_load_b128 v[64:67], v[2:3], off
	v_add_f64 v[24:25], v[24:25], v[102:103]
	v_add_f64 v[26:27], v[110:111], v[96:97]
	;; [unrolled: 1-line block ×3, first 2 shown]
	s_waitcnt vmcnt(0)
	v_mul_f64 v[4:5], v[74:75], v[66:67]
	s_delay_alu instid0(VALU_DEP_1) | instskip(SKIP_1) | instid1(VALU_DEP_2)
	v_fma_f64 v[104:105], v[72:73], v[64:65], -v[4:5]
	v_mul_f64 v[4:5], v[72:73], v[66:67]
	v_add_f64 v[28:29], v[104:105], v[90:91]
	s_delay_alu instid0(VALU_DEP_2) | instskip(SKIP_3) | instid1(VALU_DEP_1)
	v_fma_f64 v[108:109], v[74:75], v[64:65], v[4:5]
	global_load_b128 v[72:75], v[0:1], off offset:16
	v_add_f64 v[28:29], v[28:29], v[94:95]
	v_add_f64 v[30:31], v[108:109], v[88:89]
	;; [unrolled: 1-line block ×3, first 2 shown]
	s_waitcnt vmcnt(0)
	v_mul_f64 v[4:5], v[78:79], v[74:75]
	v_mul_f64 v[6:7], v[76:77], v[74:75]
	s_delay_alu instid0(VALU_DEP_2) | instskip(NEXT) | instid1(VALU_DEP_2)
	v_fma_f64 v[4:5], v[76:77], v[72:73], -v[4:5]
	v_fma_f64 v[6:7], v[78:79], v[72:73], v[6:7]
	ds_load_b128 v[76:79], v218 offset:31104
	s_waitcnt lgkmcnt(0)
	v_mul_f64 v[0:1], v[78:79], v[86:87]
	v_mul_f64 v[8:9], v[76:77], v[86:87]
	s_delay_alu instid0(VALU_DEP_2) | instskip(NEXT) | instid1(VALU_DEP_2)
	v_fma_f64 v[0:1], v[76:77], v[84:85], -v[0:1]
	v_fma_f64 v[8:9], v[78:79], v[84:85], v[8:9]
	ds_load_b128 v[76:79], v218 offset:19440
	s_waitcnt lgkmcnt(0)
	v_mul_f64 v[10:11], v[78:79], v[82:83]
	v_mul_f64 v[12:13], v[76:77], v[82:83]
	v_add_f64 v[16:17], v[4:5], v[0:1]
	v_add_f64 v[18:19], v[6:7], v[8:9]
	s_delay_alu instid0(VALU_DEP_4) | instskip(NEXT) | instid1(VALU_DEP_4)
	v_fma_f64 v[10:11], v[76:77], v[80:81], -v[10:11]
	v_fma_f64 v[12:13], v[78:79], v[80:81], v[12:13]
	global_load_b128 v[76:79], v[2:3], off offset:48
	s_waitcnt vmcnt(0)
	v_mul_f64 v[2:3], v[119:120], v[78:79]
	v_mul_f64 v[14:15], v[117:118], v[78:79]
	s_delay_alu instid0(VALU_DEP_2) | instskip(NEXT) | instid1(VALU_DEP_2)
	v_fma_f64 v[2:3], v[117:118], v[76:77], -v[2:3]
	v_fma_f64 v[14:15], v[119:120], v[76:77], v[14:15]
	ds_load_b128 v[117:120], v218
	s_waitcnt lgkmcnt(0)
	s_barrier
	buffer_gl0_inv
	v_add_f64 v[20:21], v[117:118], v[4:5]
	v_add_f64 v[22:23], v[119:120], v[6:7]
	v_fma_f64 v[16:17], v[16:17], -0.5, v[117:118]
	v_fma_f64 v[18:19], v[18:19], -0.5, v[119:120]
	v_add_f64 v[6:7], v[6:7], -v[8:9]
	v_add_f64 v[20:21], v[20:21], v[0:1]
	v_add_f64 v[22:23], v[22:23], v[8:9]
	v_add_f64 v[0:1], v[4:5], -v[0:1]
	s_delay_alu instid0(VALU_DEP_3)
	v_add_f64 v[117:118], v[20:21], v[24:25]
	v_add_f64 v[121:122], v[20:21], -v[24:25]
	v_add_f64 v[24:25], v[125:126], v[10:11]
	v_add_f64 v[119:120], v[22:23], v[26:27]
	v_add_f64 v[123:124], v[22:23], -v[26:27]
	v_add_f64 v[20:21], v[10:11], v[2:3]
	v_add_f64 v[26:27], v[127:128], v[12:13]
	;; [unrolled: 1-line block ×3, first 2 shown]
	v_fma_f64 v[34:35], v[0:1], s[8:9], v[18:19]
	v_fma_f64 v[0:1], v[0:1], s[2:3], v[18:19]
	v_add_f64 v[12:13], v[12:13], -v[14:15]
	v_add_f64 v[24:25], v[24:25], v[2:3]
	v_add_f64 v[2:3], v[10:11], -v[2:3]
	v_fma_f64 v[20:21], v[20:21], -0.5, v[125:126]
	v_add_f64 v[26:27], v[26:27], v[14:15]
	v_fma_f64 v[22:23], v[22:23], -0.5, v[127:128]
	v_add_f64 v[125:126], v[24:25], v[28:29]
	v_add_f64 v[129:130], v[24:25], -v[28:29]
	v_add_f64 v[28:29], v[96:97], v[100:101]
	v_add_f64 v[24:25], v[98:99], v[102:103]
	;; [unrolled: 1-line block ×3, first 2 shown]
	v_add_f64 v[131:132], v[26:27], -v[30:31]
	v_add_f64 v[26:27], v[98:99], -v[102:103]
	;; [unrolled: 1-line block ×3, first 2 shown]
	v_fma_f64 v[18:19], v[2:3], s[8:9], v[22:23]
	v_fma_f64 v[2:3], v[2:3], s[2:3], v[22:23]
	v_fma_f64 v[28:29], v[28:29], -0.5, v[110:111]
	v_fma_f64 v[4:5], v[24:25], -0.5, v[106:107]
	s_delay_alu instid0(VALU_DEP_2) | instskip(NEXT) | instid1(VALU_DEP_2)
	v_fma_f64 v[8:9], v[26:27], s[8:9], v[28:29]
	v_fma_f64 v[24:25], v[30:31], s[2:3], v[4:5]
	;; [unrolled: 1-line block ×3, first 2 shown]
	s_delay_alu instid0(VALU_DEP_3) | instskip(NEXT) | instid1(VALU_DEP_1)
	v_mul_f64 v[32:33], v[8:9], s[2:3]
	v_fma_f64 v[32:33], v[24:25], 0.5, v[32:33]
	v_mul_f64 v[24:25], v[24:25], s[8:9]
	s_delay_alu instid0(VALU_DEP_1) | instskip(SKIP_3) | instid1(VALU_DEP_4)
	v_fma_f64 v[8:9], v[8:9], 0.5, v[24:25]
	v_fma_f64 v[24:25], v[6:7], s[2:3], v[16:17]
	v_fma_f64 v[6:7], v[6:7], s[8:9], v[16:17]
	v_mul_f64 v[16:17], v[4:5], -0.5
	v_add_f64 v[98:99], v[34:35], v[8:9]
	v_add_f64 v[102:103], v[34:35], -v[8:9]
	v_fma_f64 v[8:9], v[26:27], s[2:3], v[28:29]
	v_add_f64 v[96:97], v[24:25], v[32:33]
	v_add_f64 v[100:101], v[24:25], -v[32:33]
	s_delay_alu instid0(VALU_DEP_3) | instskip(SKIP_1) | instid1(VALU_DEP_2)
	v_fma_f64 v[16:17], v[8:9], s[2:3], v[16:17]
	v_mul_f64 v[8:9], v[8:9], -0.5
	v_add_f64 v[133:134], v[6:7], v[16:17]
	s_delay_alu instid0(VALU_DEP_2) | instskip(SKIP_3) | instid1(VALU_DEP_4)
	v_fma_f64 v[4:5], v[4:5], s[8:9], v[8:9]
	v_add_f64 v[141:142], v[6:7], -v[16:17]
	v_add_f64 v[6:7], v[88:89], v[92:93]
	v_add_f64 v[8:9], v[88:89], -v[92:93]
	v_add_f64 v[135:136], v[0:1], v[4:5]
	;; [unrolled: 2-line block ×3, first 2 shown]
	v_add_f64 v[4:5], v[90:91], -v[94:95]
	v_fma_f64 v[6:7], v[6:7], -0.5, v[108:109]
	s_delay_alu instid0(VALU_DEP_3) | instskip(NEXT) | instid1(VALU_DEP_2)
	v_fma_f64 v[0:1], v[0:1], -0.5, v[104:105]
	v_fma_f64 v[10:11], v[4:5], s[8:9], v[6:7]
	v_fma_f64 v[4:5], v[4:5], s[2:3], v[6:7]
	;; [unrolled: 1-line block ×3, first 2 shown]
	s_delay_alu instid0(VALU_DEP_4) | instskip(SKIP_2) | instid1(VALU_DEP_2)
	v_fma_f64 v[14:15], v[8:9], s[2:3], v[0:1]
	v_fma_f64 v[0:1], v[8:9], s[8:9], v[0:1]
	v_mul_f64 v[16:17], v[10:11], s[2:3]
	v_mul_f64 v[8:9], v[0:1], -0.5
	s_delay_alu instid0(VALU_DEP_2) | instskip(SKIP_1) | instid1(VALU_DEP_3)
	v_fma_f64 v[16:17], v[14:15], 0.5, v[16:17]
	v_mul_f64 v[14:15], v[14:15], s[8:9]
	v_fma_f64 v[8:9], v[4:5], s[2:3], v[8:9]
	v_mul_f64 v[4:5], v[4:5], -0.5
	s_delay_alu instid0(VALU_DEP_3) | instskip(SKIP_1) | instid1(VALU_DEP_4)
	v_fma_f64 v[10:11], v[10:11], 0.5, v[14:15]
	v_fma_f64 v[14:15], v[12:13], s[2:3], v[20:21]
	v_add_f64 v[104:105], v[6:7], v[8:9]
	s_delay_alu instid0(VALU_DEP_4) | instskip(NEXT) | instid1(VALU_DEP_4)
	v_fma_f64 v[0:1], v[0:1], s[8:9], v[4:5]
	v_add_f64 v[90:91], v[18:19], v[10:11]
	s_delay_alu instid0(VALU_DEP_4) | instskip(SKIP_4) | instid1(VALU_DEP_1)
	v_add_f64 v[88:89], v[14:15], v[16:17]
	v_add_f64 v[92:93], v[14:15], -v[16:17]
	v_add_f64 v[94:95], v[18:19], -v[10:11]
	;; [unrolled: 1-line block ×3, first 2 shown]
	v_mov_b32_e32 v6, v137
	v_add_co_u32 v206, null, 0x1e6, v6
	v_add_co_u32 v208, null, 0x2d9, v6
	v_mov_b32_e32 v36, v6
	s_delay_alu instid0(VALU_DEP_3) | instskip(NEXT) | instid1(VALU_DEP_3)
	v_and_b32_e32 v158, 0xffff, v206
	v_and_b32_e32 v157, 0xffff, v208
	v_lshrrev_b16 v24, 2, v208
	s_delay_alu instid0(VALU_DEP_1) | instskip(NEXT) | instid1(VALU_DEP_1)
	v_and_b32_e32 v24, 0xffff, v24
	v_mul_u32_u24_e32 v24, 0x4bdb, v24
	s_delay_alu instid0(VALU_DEP_1) | instskip(SKIP_3) | instid1(VALU_DEP_4)
	v_lshrrev_b32_e32 v199, 19, v24
	v_add_f64 v[106:107], v[2:3], v[0:1]
	v_add_f64 v[110:111], v[2:3], -v[0:1]
	v_and_b32_e32 v0, 0xffff, v114
	v_mul_lo_u16 v24, 0x6c, v199
	s_delay_alu instid0(VALU_DEP_2) | instskip(NEXT) | instid1(VALU_DEP_2)
	v_mul_u32_u24_e32 v0, 36, v0
	v_sub_nc_u16 v200, v208, v24
	s_delay_alu instid0(VALU_DEP_2)
	v_add_lshl_u32 v224, v0, v113, 4
	v_mad_u16 v0, v115, 36, v116
	ds_store_b128 v224, v[117:120]
	ds_store_b128 v224, v[121:124] offset:288
	ds_store_b128 v224, v[96:99] offset:96
	;; [unrolled: 1-line block ×5, first 2 shown]
	v_and_b32_e32 v0, 0xffff, v0
	v_lshlrev_b16 v24, 5, v200
	s_delay_alu instid0(VALU_DEP_2)
	v_lshlrev_b32_e32 v223, 4, v0
	v_mul_lo_u16 v0, v140, 57
	ds_store_b128 v223, v[125:128]
	ds_store_b128 v223, v[88:91] offset:96
	ds_store_b128 v223, v[104:107] offset:192
	;; [unrolled: 1-line block ×5, first 2 shown]
	v_lshrrev_b16 v141, 11, v0
	s_waitcnt lgkmcnt(0)
	s_barrier
	buffer_gl0_inv
	ds_load_b128 v[92:95], v218 offset:15552
	ds_load_b128 v[100:103], v218 offset:19440
	v_mul_lo_u16 v0, v141, 36
	ds_load_b128 v[96:99], v218 offset:31104
	ds_load_b128 v[104:107], v218 offset:34992
	;; [unrolled: 1-line block ×4, first 2 shown]
	v_sub_nc_u16 v0, v205, v0
	ds_load_b128 v[149:152], v218 offset:42768
	ds_load_b128 v[167:170], v218 offset:3888
	v_and_b32_e32 v24, 0xffff, v24
	ds_load_b128 v[175:178], v218 offset:11664
	v_and_b32_e32 v142, 0xff, v0
	s_delay_alu instid0(VALU_DEP_1) | instskip(SKIP_3) | instid1(VALU_DEP_1)
	v_lshlrev_b32_e32 v2, 5, v142
	global_load_b128 v[88:91], v2, s[10:11] offset:480
	s_waitcnt vmcnt(0) lgkmcnt(8)
	v_mul_f64 v[0:1], v[94:95], v[90:91]
	v_fma_f64 v[122:123], v[92:93], v[88:89], -v[0:1]
	v_mul_f64 v[0:1], v[92:93], v[90:91]
	s_delay_alu instid0(VALU_DEP_1) | instskip(SKIP_3) | instid1(VALU_DEP_1)
	v_fma_f64 v[0:1], v[94:95], v[88:89], v[0:1]
	global_load_b128 v[92:95], v2, s[10:11] offset:496
	s_waitcnt vmcnt(0) lgkmcnt(6)
	v_mul_f64 v[2:3], v[98:99], v[94:95]
	v_fma_f64 v[128:129], v[96:97], v[92:93], -v[2:3]
	v_mul_f64 v[2:3], v[96:97], v[94:95]
	s_delay_alu instid0(VALU_DEP_2) | instskip(NEXT) | instid1(VALU_DEP_2)
	v_add_f64 v[12:13], v[122:123], v[128:129]
	v_fma_f64 v[134:135], v[98:99], v[92:93], v[2:3]
	v_mul_u32_u24_e32 v2, 0xe38f, v112
	ds_load_b128 v[112:115], v218 offset:38880
	v_lshrrev_b32_e32 v143, 21, v2
	s_delay_alu instid0(VALU_DEP_1) | instskip(NEXT) | instid1(VALU_DEP_1)
	v_mul_lo_u16 v2, v143, 36
	v_sub_nc_u16 v144, v192, v2
	s_delay_alu instid0(VALU_DEP_1) | instskip(NEXT) | instid1(VALU_DEP_1)
	v_lshlrev_b16 v2, 5, v144
	v_and_b32_e32 v2, 0xffff, v2
	s_delay_alu instid0(VALU_DEP_1) | instskip(NEXT) | instid1(VALU_DEP_1)
	v_add_co_u32 v2, s13, s10, v2
	v_add_co_ci_u32_e64 v3, null, s11, 0, s13
	global_load_b128 v[96:99], v[2:3], off offset:480
	v_add_f64 v[14:15], v[0:1], v[134:135]
	s_waitcnt vmcnt(0)
	v_mul_f64 v[4:5], v[102:103], v[98:99]
	s_delay_alu instid0(VALU_DEP_1) | instskip(SKIP_1) | instid1(VALU_DEP_1)
	v_fma_f64 v[120:121], v[100:101], v[96:97], -v[4:5]
	v_mul_f64 v[4:5], v[100:101], v[98:99]
	v_fma_f64 v[124:125], v[102:103], v[96:97], v[4:5]
	global_load_b128 v[100:103], v[2:3], off offset:496
	s_waitcnt vmcnt(0) lgkmcnt(6)
	v_mul_f64 v[2:3], v[106:107], v[102:103]
	s_delay_alu instid0(VALU_DEP_1) | instskip(SKIP_1) | instid1(VALU_DEP_1)
	v_fma_f64 v[126:127], v[104:105], v[100:101], -v[2:3]
	v_mul_f64 v[2:3], v[104:105], v[102:103]
	v_fma_f64 v[132:133], v[106:107], v[100:101], v[2:3]
	v_mul_u32_u24_e32 v2, 0xe38f, v158
	s_delay_alu instid0(VALU_DEP_1) | instskip(NEXT) | instid1(VALU_DEP_1)
	v_lshrrev_b32_e32 v145, 21, v2
	v_mul_lo_u16 v2, v145, 36
	s_delay_alu instid0(VALU_DEP_1) | instskip(NEXT) | instid1(VALU_DEP_1)
	v_sub_nc_u16 v146, v206, v2
	v_lshlrev_b16 v2, 5, v146
	s_delay_alu instid0(VALU_DEP_1) | instskip(NEXT) | instid1(VALU_DEP_1)
	v_and_b32_e32 v2, 0xffff, v2
	v_add_co_u32 v2, s13, s10, v2
	s_delay_alu instid0(VALU_DEP_1) | instskip(SKIP_3) | instid1(VALU_DEP_1)
	v_add_co_ci_u32_e64 v3, null, s11, 0, s13
	global_load_b128 v[104:107], v[2:3], off offset:480
	s_waitcnt vmcnt(0) lgkmcnt(5)
	v_mul_f64 v[4:5], v[110:111], v[106:107]
	v_fma_f64 v[130:131], v[108:109], v[104:105], -v[4:5]
	v_mul_f64 v[4:5], v[108:109], v[106:107]
	s_delay_alu instid0(VALU_DEP_1) | instskip(SKIP_2) | instid1(VALU_DEP_1)
	v_fma_f64 v[136:137], v[110:111], v[104:105], v[4:5]
	global_load_b128 v[108:111], v[2:3], off offset:496
	v_mul_u32_u24_e32 v4, 0xe38f, v157
	v_lshrrev_b32_e32 v147, 21, v4
	s_delay_alu instid0(VALU_DEP_1) | instskip(NEXT) | instid1(VALU_DEP_1)
	v_mul_lo_u16 v4, v147, 36
	v_sub_nc_u16 v148, v208, v4
	s_delay_alu instid0(VALU_DEP_1) | instskip(NEXT) | instid1(VALU_DEP_1)
	v_lshlrev_b16 v4, 5, v148
	v_and_b32_e32 v4, 0xffff, v4
	s_delay_alu instid0(VALU_DEP_1) | instskip(NEXT) | instid1(VALU_DEP_1)
	v_add_co_u32 v4, s13, s10, v4
	v_add_co_ci_u32_e64 v5, null, s11, 0, s13
	s_waitcnt vmcnt(0) lgkmcnt(0)
	v_mul_f64 v[2:3], v[114:115], v[110:111]
	s_delay_alu instid0(VALU_DEP_1) | instskip(SKIP_1) | instid1(VALU_DEP_1)
	v_fma_f64 v[138:139], v[112:113], v[108:109], -v[2:3]
	v_mul_f64 v[2:3], v[112:113], v[110:111]
	v_fma_f64 v[2:3], v[114:115], v[108:109], v[2:3]
	global_load_b128 v[112:115], v[4:5], off offset:480
	s_waitcnt vmcnt(0)
	v_mul_f64 v[6:7], v[118:119], v[114:115]
	v_mul_f64 v[8:9], v[116:117], v[114:115]
	s_delay_alu instid0(VALU_DEP_2) | instskip(NEXT) | instid1(VALU_DEP_2)
	v_fma_f64 v[6:7], v[116:117], v[112:113], -v[6:7]
	v_fma_f64 v[8:9], v[118:119], v[112:113], v[8:9]
	global_load_b128 v[116:119], v[4:5], off offset:496
	s_waitcnt vmcnt(0)
	v_mul_f64 v[4:5], v[151:152], v[118:119]
	v_mul_f64 v[10:11], v[149:150], v[118:119]
	s_delay_alu instid0(VALU_DEP_2) | instskip(NEXT) | instid1(VALU_DEP_2)
	v_fma_f64 v[4:5], v[149:150], v[116:117], -v[4:5]
	v_fma_f64 v[10:11], v[151:152], v[116:117], v[10:11]
	ds_load_b128 v[149:152], v218
	s_waitcnt lgkmcnt(0)
	v_fma_f64 v[12:13], v[12:13], -0.5, v[149:150]
	v_add_f64 v[16:17], v[151:152], v[0:1]
	v_add_f64 v[0:1], v[0:1], -v[134:135]
	v_fma_f64 v[14:15], v[14:15], -0.5, v[151:152]
	v_add_f64 v[18:19], v[149:150], v[122:123]
	s_delay_alu instid0(VALU_DEP_4)
	v_add_f64 v[151:152], v[16:17], v[134:135]
	v_add_f64 v[16:17], v[122:123], -v[128:129]
	v_fma_f64 v[159:160], v[0:1], s[2:3], v[12:13]
	v_fma_f64 v[163:164], v[0:1], s[8:9], v[12:13]
	v_add_f64 v[0:1], v[120:121], v[126:127]
	v_add_f64 v[149:150], v[18:19], v[128:129]
	;; [unrolled: 1-line block ×3, first 2 shown]
	v_add_f64 v[18:19], v[124:125], -v[132:133]
	v_fma_f64 v[161:162], v[16:17], s[8:9], v[14:15]
	v_fma_f64 v[165:166], v[16:17], s[2:3], v[14:15]
	v_add_f64 v[14:15], v[169:170], v[124:125]
	v_fma_f64 v[0:1], v[0:1], -0.5, v[167:168]
	v_add_f64 v[16:17], v[167:168], v[120:121]
	v_fma_f64 v[12:13], v[12:13], -0.5, v[169:170]
	ds_load_b128 v[167:170], v218 offset:7776
	s_waitcnt lgkmcnt(0)
	s_barrier
	buffer_gl0_inv
	v_add_f64 v[124:125], v[14:15], v[132:133]
	v_add_f64 v[14:15], v[120:121], -v[126:127]
	v_add_f64 v[122:123], v[16:17], v[126:127]
	v_fma_f64 v[126:127], v[18:19], s[2:3], v[0:1]
	v_fma_f64 v[132:133], v[18:19], s[8:9], v[0:1]
	v_add_f64 v[0:1], v[130:131], v[138:139]
	v_add_f64 v[18:19], v[136:137], -v[2:3]
	v_add_f64 v[16:17], v[167:168], v[130:131]
	v_fma_f64 v[128:129], v[14:15], s[8:9], v[12:13]
	v_fma_f64 v[134:135], v[14:15], s[2:3], v[12:13]
	v_add_f64 v[12:13], v[136:137], v[2:3]
	v_add_f64 v[14:15], v[169:170], v[136:137]
	v_fma_f64 v[0:1], v[0:1], -0.5, v[167:168]
	v_add_f64 v[167:168], v[16:17], v[138:139]
	v_lshrrev_b16 v16, 2, v206
	s_delay_alu instid0(VALU_DEP_1) | instskip(NEXT) | instid1(VALU_DEP_1)
	v_and_b32_e32 v16, 0xffff, v16
	v_mul_u32_u24_e32 v16, 0x4bdb, v16
	s_delay_alu instid0(VALU_DEP_1) | instskip(NEXT) | instid1(VALU_DEP_1)
	v_lshrrev_b32_e32 v197, 19, v16
	v_mul_lo_u16 v16, 0x6c, v197
	s_delay_alu instid0(VALU_DEP_1) | instskip(NEXT) | instid1(VALU_DEP_1)
	v_sub_nc_u16 v198, v206, v16
	v_lshlrev_b16 v16, 5, v198
	v_fma_f64 v[12:13], v[12:13], -0.5, v[169:170]
	v_add_f64 v[169:170], v[14:15], v[2:3]
	v_add_f64 v[2:3], v[130:131], -v[138:139]
	v_fma_f64 v[136:137], v[18:19], s[2:3], v[0:1]
	v_fma_f64 v[171:172], v[18:19], s[8:9], v[0:1]
	v_add_f64 v[0:1], v[6:7], v[4:5]
	v_add_f64 v[14:15], v[175:176], v[6:7]
	v_and_b32_e32 v16, 0xffff, v16
	v_fma_f64 v[138:139], v[2:3], s[8:9], v[12:13]
	v_fma_f64 v[173:174], v[2:3], s[2:3], v[12:13]
	v_add_f64 v[2:3], v[8:9], v[10:11]
	v_fma_f64 v[0:1], v[0:1], -0.5, v[175:176]
	v_add_f64 v[12:13], v[177:178], v[8:9]
	v_add_f64 v[8:9], v[8:9], -v[10:11]
	v_add_f64 v[175:176], v[14:15], v[4:5]
	v_add_f64 v[4:5], v[6:7], -v[4:5]
	v_fma_f64 v[2:3], v[2:3], -0.5, v[177:178]
	v_add_f64 v[177:178], v[12:13], v[10:11]
	v_fma_f64 v[179:180], v[8:9], s[2:3], v[0:1]
	v_fma_f64 v[183:184], v[8:9], s[8:9], v[0:1]
	v_and_b32_e32 v0, 0xffff, v141
	v_lshrrev_b16 v8, 2, v192
	s_delay_alu instid0(VALU_DEP_2) | instskip(NEXT) | instid1(VALU_DEP_2)
	v_mul_u32_u24_e32 v0, 0x6c, v0
	v_and_b32_e32 v8, 0xffff, v8
	s_delay_alu instid0(VALU_DEP_2)
	v_add_lshl_u32 v39, v0, v142, 4
	v_mad_u16 v0, 0x6c, v143, v144
	ds_store_b128 v39, v[149:152]
	ds_store_b128 v39, v[159:162] offset:576
	ds_store_b128 v39, v[163:166] offset:1152
	v_and_b32_e32 v0, 0xffff, v0
	v_mul_u32_u24_e32 v8, 0x4bdb, v8
	s_delay_alu instid0(VALU_DEP_2) | instskip(NEXT) | instid1(VALU_DEP_2)
	v_lshlrev_b32_e32 v0, 4, v0
	v_lshrrev_b32_e32 v156, 19, v8
	scratch_store_b32 off, v0, off offset:140 ; 4-byte Folded Spill
	ds_store_b128 v0, v[122:125]
	ds_store_b128 v0, v[126:129] offset:576
	ds_store_b128 v0, v[132:135] offset:1152
	v_mad_u16 v0, 0x6c, v145, v146
	v_mul_lo_u16 v8, 0x6c, v156
	s_delay_alu instid0(VALU_DEP_2) | instskip(SKIP_2) | instid1(VALU_DEP_4)
	v_and_b32_e32 v0, 0xffff, v0
	v_fma_f64 v[181:182], v[4:5], s[8:9], v[2:3]
	v_fma_f64 v[185:186], v[4:5], s[2:3], v[2:3]
	v_sub_nc_u16 v191, v192, v8
	s_delay_alu instid0(VALU_DEP_4)
	v_lshlrev_b32_e32 v38, 4, v0
	v_mad_u16 v0, 0x6c, v147, v148
	ds_store_b128 v38, v[167:170]
	ds_store_b128 v38, v[136:139] offset:576
	ds_store_b128 v38, v[171:174] offset:1152
	v_and_b32_e32 v0, 0xffff, v0
	v_lshlrev_b16 v8, 5, v191
	s_delay_alu instid0(VALU_DEP_2)
	v_lshlrev_b32_e32 v37, 4, v0
	v_mul_lo_u16 v0, v140, 19
	ds_store_b128 v37, v[175:178]
	ds_store_b128 v37, v[179:182] offset:576
	ds_store_b128 v37, v[183:186] offset:1152
	v_lshrrev_b16 v153, 11, v0
	s_waitcnt lgkmcnt(0)
	s_waitcnt_vscnt null, 0x0
	s_barrier
	buffer_gl0_inv
	ds_load_b128 v[124:127], v218 offset:15552
	ds_load_b128 v[201:204], v218 offset:11664
	v_mul_lo_u16 v0, 0x6c, v153
	ds_load_b128 v[128:131], v218 offset:31104
	ds_load_b128 v[148:151], v218 offset:27216
	v_and_b32_e32 v8, 0xffff, v8
	ds_load_b128 v[132:135], v218 offset:19440
	ds_load_b128 v[140:143], v218 offset:23328
	v_sub_nc_u16 v0, v205, v0
	ds_load_b128 v[136:139], v218 offset:34992
	ds_load_b128 v[144:147], v218 offset:38880
	v_add_co_u32 v8, s13, s10, v8
	v_and_b32_e32 v152, 0xff, v0
	v_add_co_ci_u32_e64 v9, null, s11, 0, s13
	v_add_co_u32 v16, s13, s10, v16
	s_delay_alu instid0(VALU_DEP_3)
	v_lshlrev_b32_e32 v4, 5, v152
	v_add_co_ci_u32_e64 v17, null, s11, 0, s13
	v_add_co_u32 v24, s13, s10, v24
	global_load_b128 v[120:123], v4, s[10:11] offset:1632
	v_add_co_ci_u32_e64 v25, null, s11, 0, s13
	ds_load_b128 v[159:162], v218 offset:42768
	ds_load_b128 v[171:174], v218 offset:3888
	;; [unrolled: 1-line block ×3, first 2 shown]
	s_waitcnt vmcnt(0) lgkmcnt(10)
	v_mul_f64 v[0:1], v[126:127], v[122:123]
	v_mul_f64 v[2:3], v[124:125], v[122:123]
	s_delay_alu instid0(VALU_DEP_2) | instskip(NEXT) | instid1(VALU_DEP_2)
	v_fma_f64 v[0:1], v[124:125], v[120:121], -v[0:1]
	v_fma_f64 v[2:3], v[126:127], v[120:121], v[2:3]
	global_load_b128 v[124:127], v4, s[10:11] offset:1648
	s_waitcnt vmcnt(0) lgkmcnt(8)
	v_mul_f64 v[4:5], v[130:131], v[126:127]
	v_mul_f64 v[6:7], v[128:129], v[126:127]
	s_delay_alu instid0(VALU_DEP_2) | instskip(NEXT) | instid1(VALU_DEP_2)
	v_fma_f64 v[4:5], v[128:129], v[124:125], -v[4:5]
	v_fma_f64 v[6:7], v[130:131], v[124:125], v[6:7]
	global_load_b128 v[128:131], v[8:9], off offset:1632
	v_add_f64 v[32:33], v[0:1], v[4:5]
	v_add_f64 v[34:35], v[2:3], v[6:7]
	s_waitcnt vmcnt(0) lgkmcnt(6)
	v_mul_f64 v[10:11], v[134:135], v[130:131]
	v_mul_f64 v[12:13], v[132:133], v[130:131]
	s_delay_alu instid0(VALU_DEP_2) | instskip(NEXT) | instid1(VALU_DEP_2)
	v_fma_f64 v[10:11], v[132:133], v[128:129], -v[10:11]
	v_fma_f64 v[12:13], v[134:135], v[128:129], v[12:13]
	global_load_b128 v[132:135], v[8:9], off offset:1648
	s_waitcnt vmcnt(0) lgkmcnt(4)
	v_mul_f64 v[8:9], v[138:139], v[134:135]
	v_mul_f64 v[14:15], v[136:137], v[134:135]
	s_delay_alu instid0(VALU_DEP_2) | instskip(NEXT) | instid1(VALU_DEP_2)
	v_fma_f64 v[8:9], v[136:137], v[132:133], -v[8:9]
	v_fma_f64 v[14:15], v[138:139], v[132:133], v[14:15]
	global_load_b128 v[136:139], v[16:17], off offset:1632
	s_waitcnt vmcnt(0)
	v_mul_f64 v[18:19], v[142:143], v[138:139]
	v_mul_f64 v[20:21], v[140:141], v[138:139]
	s_delay_alu instid0(VALU_DEP_2) | instskip(NEXT) | instid1(VALU_DEP_2)
	v_fma_f64 v[18:19], v[140:141], v[136:137], -v[18:19]
	v_fma_f64 v[20:21], v[142:143], v[136:137], v[20:21]
	global_load_b128 v[140:143], v[16:17], off offset:1648
	s_waitcnt vmcnt(0) lgkmcnt(3)
	v_mul_f64 v[16:17], v[146:147], v[142:143]
	v_mul_f64 v[22:23], v[144:145], v[142:143]
	s_delay_alu instid0(VALU_DEP_2) | instskip(NEXT) | instid1(VALU_DEP_2)
	v_fma_f64 v[16:17], v[144:145], v[140:141], -v[16:17]
	v_fma_f64 v[22:23], v[146:147], v[140:141], v[22:23]
	global_load_b128 v[144:147], v[24:25], off offset:1632
	s_waitcnt vmcnt(0)
	v_mul_f64 v[26:27], v[150:151], v[146:147]
	v_mul_f64 v[28:29], v[148:149], v[146:147]
	s_delay_alu instid0(VALU_DEP_2) | instskip(NEXT) | instid1(VALU_DEP_2)
	v_fma_f64 v[26:27], v[148:149], v[144:145], -v[26:27]
	v_fma_f64 v[28:29], v[150:151], v[144:145], v[28:29]
	global_load_b128 v[148:151], v[24:25], off offset:1648
	s_waitcnt vmcnt(0) lgkmcnt(2)
	v_mul_f64 v[24:25], v[161:162], v[150:151]
	v_mul_f64 v[30:31], v[159:160], v[150:151]
	s_delay_alu instid0(VALU_DEP_2) | instskip(NEXT) | instid1(VALU_DEP_2)
	v_fma_f64 v[24:25], v[159:160], v[148:149], -v[24:25]
	v_fma_f64 v[30:31], v[161:162], v[148:149], v[30:31]
	ds_load_b128 v[159:162], v218
	s_waitcnt lgkmcnt(0)
	v_fma_f64 v[32:33], v[32:33], -0.5, v[159:160]
	v_fma_f64 v[34:35], v[34:35], -0.5, v[161:162]
	v_add_f64 v[159:160], v[159:160], v[0:1]
	v_add_f64 v[0:1], v[0:1], -v[4:5]
	v_add_f64 v[154:155], v[161:162], v[2:3]
	v_add_f64 v[2:3], v[2:3], -v[6:7]
	s_delay_alu instid0(VALU_DEP_4) | instskip(NEXT) | instid1(VALU_DEP_4)
	v_add_f64 v[159:160], v[159:160], v[4:5]
	v_fma_f64 v[165:166], v[0:1], s[8:9], v[34:35]
	v_fma_f64 v[169:170], v[0:1], s[2:3], v[34:35]
	v_add_f64 v[0:1], v[10:11], v[8:9]
	v_fma_f64 v[163:164], v[2:3], s[2:3], v[32:33]
	v_fma_f64 v[167:168], v[2:3], s[8:9], v[32:33]
	v_add_f64 v[2:3], v[12:13], v[14:15]
	v_add_f64 v[4:5], v[173:174], v[12:13]
	v_add_f64 v[12:13], v[12:13], -v[14:15]
	v_add_f64 v[161:162], v[154:155], v[6:7]
	v_add_f64 v[6:7], v[171:172], v[10:11]
	v_fma_f64 v[0:1], v[0:1], -0.5, v[171:172]
	v_fma_f64 v[2:3], v[2:3], -0.5, v[173:174]
	v_add_f64 v[173:174], v[4:5], v[14:15]
	v_add_f64 v[4:5], v[10:11], -v[8:9]
	v_add_f64 v[171:172], v[6:7], v[8:9]
	v_add_f64 v[8:9], v[20:21], -v[22:23]
	v_add_f64 v[6:7], v[183:184], v[18:19]
	v_fma_f64 v[175:176], v[12:13], s[2:3], v[0:1]
	v_fma_f64 v[179:180], v[12:13], s[8:9], v[0:1]
	v_add_f64 v[0:1], v[18:19], v[16:17]
	v_fma_f64 v[177:178], v[4:5], s[8:9], v[2:3]
	v_fma_f64 v[181:182], v[4:5], s[2:3], v[2:3]
	v_add_f64 v[2:3], v[20:21], v[22:23]
	v_add_f64 v[4:5], v[185:186], v[20:21]
	v_fma_f64 v[0:1], v[0:1], -0.5, v[183:184]
	v_add_f64 v[183:184], v[6:7], v[16:17]
	v_add_f64 v[6:7], v[201:202], v[26:27]
	v_fma_f64 v[2:3], v[2:3], -0.5, v[185:186]
	v_add_f64 v[185:186], v[4:5], v[22:23]
	v_add_f64 v[4:5], v[18:19], -v[16:17]
	v_mul_u32_u24_e32 v17, 0x6523, v158
	v_fma_f64 v[187:188], v[8:9], s[2:3], v[0:1]
	v_fma_f64 v[193:194], v[8:9], s[8:9], v[0:1]
	v_add_f64 v[0:1], v[26:27], v[24:25]
	v_add_f64 v[8:9], v[28:29], -v[30:31]
	v_fma_f64 v[189:190], v[4:5], s[8:9], v[2:3]
	v_fma_f64 v[195:196], v[4:5], s[2:3], v[2:3]
	v_add_f64 v[2:3], v[28:29], v[30:31]
	v_add_f64 v[4:5], v[203:204], v[28:29]
	v_fma_f64 v[0:1], v[0:1], -0.5, v[201:202]
	v_add_f64 v[201:202], v[6:7], v[24:25]
	s_delay_alu instid0(VALU_DEP_4) | instskip(NEXT) | instid1(VALU_DEP_4)
	v_fma_f64 v[2:3], v[2:3], -0.5, v[203:204]
	v_add_f64 v[203:204], v[4:5], v[30:31]
	v_add_f64 v[4:5], v[26:27], -v[24:25]
	v_mul_u32_u24_e32 v25, 0x6523, v157
	s_delay_alu instid0(VALU_DEP_1) | instskip(NEXT) | instid1(VALU_DEP_1)
	v_lshrrev_b32_e32 v25, 23, v25
	v_mul_lo_u16 v25, 0x144, v25
	v_fma_f64 v[209:210], v[8:9], s[2:3], v[0:1]
	v_fma_f64 v[233:234], v[8:9], s[8:9], v[0:1]
	v_and_b32_e32 v0, 0xffff, v153
	v_add_co_ci_u32_e64 v9, null, 0, 0, s12
	s_delay_alu instid0(VALU_DEP_2) | instskip(SKIP_2) | instid1(VALU_DEP_3)
	v_mul_u32_u24_e32 v0, 0x144, v0
	v_fma_f64 v[211:212], v[4:5], s[8:9], v[2:3]
	v_fma_f64 v[235:236], v[4:5], s[2:3], v[2:3]
	v_add_lshl_u32 v0, v0, v152, 4
	scratch_store_b32 off, v0, off offset:152 ; 4-byte Folded Spill
	s_waitcnt_vscnt null, 0x0
	s_barrier
	buffer_gl0_inv
	ds_store_b128 v0, v[159:162]
	ds_store_b128 v0, v[163:166] offset:1728
	ds_store_b128 v0, v[167:170] offset:3456
	v_mad_u16 v0, 0x144, v156, v191
	s_delay_alu instid0(VALU_DEP_1) | instskip(NEXT) | instid1(VALU_DEP_1)
	v_and_b32_e32 v0, 0xffff, v0
	v_lshlrev_b32_e32 v0, 4, v0
	scratch_store_b32 off, v0, off offset:148 ; 4-byte Folded Spill
	ds_store_b128 v0, v[171:174]
	ds_store_b128 v0, v[175:178] offset:1728
	ds_store_b128 v0, v[179:182] offset:3456
	v_mad_u16 v0, 0x144, v197, v198
	s_delay_alu instid0(VALU_DEP_1) | instskip(NEXT) | instid1(VALU_DEP_1)
	v_and_b32_e32 v0, 0xffff, v0
	v_lshlrev_b32_e32 v0, 4, v0
	scratch_store_b32 off, v0, off offset:144 ; 4-byte Folded Spill
	ds_store_b128 v0, v[183:186]
	ds_store_b128 v0, v[187:190] offset:1728
	ds_store_b128 v0, v[193:196] offset:3456
	v_mad_u16 v0, 0x144, v199, v200
	s_delay_alu instid0(VALU_DEP_1) | instskip(NEXT) | instid1(VALU_DEP_1)
	v_and_b32_e32 v0, 0xffff, v0
	v_lshlrev_b32_e32 v217, 4, v0
	v_lshlrev_b32_e32 v0, 5, v36
	ds_store_b128 v217, v[201:204]
	ds_store_b128 v217, v[209:212] offset:1728
	ds_store_b128 v217, v[233:236] offset:3456
	v_add_co_u32 v180, s13, s10, v0
	s_delay_alu instid0(VALU_DEP_1)
	v_add_co_ci_u32_e64 v181, null, s11, 0, s13
	scratch_store_b32 off, v36, off offset:136 ; 4-byte Folded Spill
	v_add_co_u32 v0, vcc_lo, 0x1000, v180
	v_add_co_ci_u32_e32 v1, vcc_lo, 0, v181, vcc_lo
	s_waitcnt lgkmcnt(0)
	s_waitcnt_vscnt null, 0x0
	s_barrier
	buffer_gl0_inv
	global_load_b128 v[152:155], v[0:1], off offset:992
	ds_load_b128 v[159:162], v218 offset:15552
	ds_load_b128 v[168:171], v218 offset:19440
	v_add_co_u32 v4, vcc_lo, 0x13e0, v180
	v_add_co_ci_u32_e32 v5, vcc_lo, 0, v181, vcc_lo
	ds_load_b128 v[164:167], v218 offset:31104
	v_add_co_u32 v8, s13, 0xffffffaf, v36
	v_cmp_gt_u16_e64 vcc_lo, 0x51, v205
	v_add_co_ci_u32_e64 v10, null, 0, -1, s13
	ds_load_b128 v[172:175], v218 offset:34992
	ds_load_b128 v[182:185], v218 offset:38880
	v_dual_cndmask_b32 v35, v8, v192 :: v_dual_cndmask_b32 v36, v10, v9
	ds_load_b128 v[176:179], v218 offset:23328
	ds_load_b128 v[188:191], v218 offset:27216
	v_sub_nc_u16 v8, v208, v25
	ds_load_b128 v[193:196], v218 offset:42768
	ds_load_b128 v[233:236], v218 offset:3888
	v_lshlrev_b64 v[9:10], 5, v[35:36]
	v_lshrrev_b32_e32 v36, 23, v17
	v_lshlrev_b16 v25, 5, v8
	ds_load_b128 v[248:251], v218 offset:7776
	v_add_co_u32 v13, vcc_lo, s10, v9
	v_add_co_ci_u32_e32 v14, vcc_lo, s11, v10, vcc_lo
	v_mul_lo_u16 v17, 0x144, v36
	s_delay_alu instid0(VALU_DEP_3) | instskip(NEXT) | instid1(VALU_DEP_3)
	v_add_co_u32 v9, vcc_lo, 0x1000, v13
	v_add_co_ci_u32_e32 v10, vcc_lo, 0, v14, vcc_lo
	v_add_co_u32 v13, vcc_lo, 0x13e0, v13
	v_add_co_ci_u32_e32 v14, vcc_lo, 0, v14, vcc_lo
	v_sub_nc_u16 v207, v206, v17
	v_and_b32_e32 v25, 0xffff, v25
	s_delay_alu instid0(VALU_DEP_2) | instskip(NEXT) | instid1(VALU_DEP_1)
	v_lshlrev_b16 v17, 5, v207
	v_and_b32_e32 v17, 0xffff, v17
	s_delay_alu instid0(VALU_DEP_1) | instskip(NEXT) | instid1(VALU_DEP_1)
	v_add_co_u32 v21, s12, s10, v17
	v_add_co_ci_u32_e64 v22, null, s11, 0, s12
	v_add_co_u32 v29, s12, s10, v25
	s_delay_alu instid0(VALU_DEP_3) | instskip(NEXT) | instid1(VALU_DEP_3)
	v_add_co_u32 v17, vcc_lo, 0x1000, v21
	v_add_co_ci_u32_e32 v18, vcc_lo, 0, v22, vcc_lo
	v_add_co_u32 v21, vcc_lo, 0x13e0, v21
	v_add_co_ci_u32_e32 v22, vcc_lo, 0, v22, vcc_lo
	v_add_co_ci_u32_e64 v30, null, s11, 0, s12
	v_add_co_u32 v25, vcc_lo, 0x1000, v29
	s_delay_alu instid0(VALU_DEP_2)
	v_add_co_ci_u32_e32 v26, vcc_lo, 0, v30, vcc_lo
	v_add_co_u32 v29, vcc_lo, 0x13e0, v29
	v_add_co_ci_u32_e32 v30, vcc_lo, 0, v30, vcc_lo
	v_cmp_lt_u16_e64 vcc_lo, 0x50, v205
	s_waitcnt vmcnt(0) lgkmcnt(9)
	v_mul_f64 v[0:1], v[161:162], v[154:155]
	v_mul_f64 v[2:3], v[159:160], v[154:155]
	s_delay_alu instid0(VALU_DEP_2) | instskip(NEXT) | instid1(VALU_DEP_2)
	v_fma_f64 v[0:1], v[159:160], v[152:153], -v[0:1]
	v_fma_f64 v[2:3], v[161:162], v[152:153], v[2:3]
	global_load_b128 v[160:163], v[4:5], off offset:16
	s_waitcnt vmcnt(0) lgkmcnt(7)
	v_mul_f64 v[4:5], v[166:167], v[162:163]
	v_mul_f64 v[6:7], v[164:165], v[162:163]
	s_delay_alu instid0(VALU_DEP_2) | instskip(NEXT) | instid1(VALU_DEP_2)
	v_fma_f64 v[4:5], v[164:165], v[160:161], -v[4:5]
	v_fma_f64 v[6:7], v[166:167], v[160:161], v[6:7]
	global_load_b128 v[164:167], v[9:10], off offset:992
	v_add_f64 v[33:34], v[0:1], v[4:5]
	v_add_f64 v[156:157], v[2:3], v[6:7]
	s_waitcnt vmcnt(0)
	v_mul_f64 v[9:10], v[170:171], v[166:167]
	v_mul_f64 v[11:12], v[168:169], v[166:167]
	s_delay_alu instid0(VALU_DEP_2) | instskip(NEXT) | instid1(VALU_DEP_2)
	v_fma_f64 v[9:10], v[168:169], v[164:165], -v[9:10]
	v_fma_f64 v[11:12], v[170:171], v[164:165], v[11:12]
	global_load_b128 v[168:171], v[13:14], off offset:16
	s_waitcnt vmcnt(0) lgkmcnt(6)
	v_mul_f64 v[13:14], v[174:175], v[170:171]
	v_mul_f64 v[15:16], v[172:173], v[170:171]
	s_delay_alu instid0(VALU_DEP_2) | instskip(NEXT) | instid1(VALU_DEP_2)
	v_fma_f64 v[13:14], v[172:173], v[168:169], -v[13:14]
	v_fma_f64 v[15:16], v[174:175], v[168:169], v[15:16]
	global_load_b128 v[172:175], v[17:18], off offset:992
	s_waitcnt vmcnt(0) lgkmcnt(4)
	v_mul_f64 v[17:18], v[178:179], v[174:175]
	v_mul_f64 v[19:20], v[176:177], v[174:175]
	s_delay_alu instid0(VALU_DEP_2) | instskip(NEXT) | instid1(VALU_DEP_2)
	v_fma_f64 v[17:18], v[176:177], v[172:173], -v[17:18]
	v_fma_f64 v[19:20], v[178:179], v[172:173], v[19:20]
	global_load_b128 v[176:179], v[21:22], off offset:16
	s_waitcnt vmcnt(0)
	v_mul_f64 v[23:24], v[182:183], v[178:179]
	v_mul_f64 v[21:22], v[184:185], v[178:179]
	s_delay_alu instid0(VALU_DEP_2)
	v_fma_f64 v[23:24], v[184:185], v[176:177], v[23:24]
	global_load_b128 v[184:187], v[25:26], off offset:992
	v_fma_f64 v[21:22], v[182:183], v[176:177], -v[21:22]
	s_waitcnt vmcnt(0) lgkmcnt(3)
	v_mul_f64 v[25:26], v[190:191], v[186:187]
	v_mul_f64 v[27:28], v[188:189], v[186:187]
	s_delay_alu instid0(VALU_DEP_2) | instskip(NEXT) | instid1(VALU_DEP_2)
	v_fma_f64 v[25:26], v[188:189], v[184:185], -v[25:26]
	v_fma_f64 v[27:28], v[190:191], v[184:185], v[27:28]
	global_load_b128 v[188:191], v[29:30], off offset:16
	s_waitcnt vmcnt(0) lgkmcnt(2)
	v_mul_f64 v[29:30], v[195:196], v[190:191]
	v_mul_f64 v[31:32], v[193:194], v[190:191]
	s_delay_alu instid0(VALU_DEP_2) | instskip(NEXT) | instid1(VALU_DEP_2)
	v_fma_f64 v[29:30], v[193:194], v[188:189], -v[29:30]
	v_fma_f64 v[31:32], v[195:196], v[188:189], v[31:32]
	ds_load_b128 v[193:196], v218
	s_waitcnt lgkmcnt(0)
	v_fma_f64 v[33:34], v[33:34], -0.5, v[193:194]
	v_add_f64 v[158:159], v[195:196], v[2:3]
	v_add_f64 v[182:183], v[193:194], v[0:1]
	v_add_f64 v[2:3], v[2:3], -v[6:7]
	v_fma_f64 v[156:157], v[156:157], -0.5, v[195:196]
	v_add_f64 v[0:1], v[0:1], -v[4:5]
	v_add_f64 v[195:196], v[158:159], v[6:7]
	v_add_f64 v[193:194], v[182:183], v[4:5]
	v_fma_f64 v[201:202], v[2:3], s[2:3], v[33:34]
	v_fma_f64 v[209:210], v[2:3], s[8:9], v[33:34]
	v_add_f64 v[2:3], v[11:12], v[15:16]
	v_add_f64 v[4:5], v[235:236], v[11:12]
	v_fma_f64 v[203:204], v[0:1], s[8:9], v[156:157]
	v_fma_f64 v[211:212], v[0:1], s[2:3], v[156:157]
	v_add_f64 v[0:1], v[9:10], v[13:14]
	v_add_f64 v[11:12], v[11:12], -v[15:16]
	v_add_f64 v[6:7], v[233:234], v[9:10]
	v_fma_f64 v[2:3], v[2:3], -0.5, v[235:236]
	v_add_f64 v[238:239], v[4:5], v[15:16]
	v_add_f64 v[4:5], v[9:10], -v[13:14]
	v_add_f64 v[9:10], v[19:20], -v[23:24]
	v_fma_f64 v[0:1], v[0:1], -0.5, v[233:234]
	v_add_f64 v[236:237], v[6:7], v[13:14]
	v_add_f64 v[6:7], v[248:249], v[17:18]
	v_fma_f64 v[242:243], v[4:5], s[8:9], v[2:3]
	v_fma_f64 v[246:247], v[4:5], s[2:3], v[2:3]
	v_add_f64 v[2:3], v[19:20], v[23:24]
	v_add_f64 v[4:5], v[250:251], v[19:20]
	v_fma_f64 v[240:241], v[11:12], s[2:3], v[0:1]
	v_fma_f64 v[244:245], v[11:12], s[8:9], v[0:1]
	v_add_f64 v[0:1], v[17:18], v[21:22]
	v_add_f64 v[11:12], v[25:26], -v[29:30]
	v_fma_f64 v[2:3], v[2:3], -0.5, v[250:251]
	v_add_f64 v[250:251], v[4:5], v[23:24]
	v_add_f64 v[4:5], v[17:18], -v[21:22]
	v_fma_f64 v[0:1], v[0:1], -0.5, v[248:249]
	v_add_f64 v[248:249], v[6:7], v[21:22]
	v_add_f64 v[6:7], v[27:28], v[31:32]
	s_delay_alu instid0(VALU_DEP_4)
	v_fma_f64 v[254:255], v[4:5], s[8:9], v[2:3]
	v_fma_f64 v[215:216], v[4:5], s[2:3], v[2:3]
	v_add_f64 v[4:5], v[25:26], v[29:30]
	v_fma_f64 v[252:253], v[9:10], s[2:3], v[0:1]
	v_fma_f64 v[213:214], v[9:10], s[8:9], v[0:1]
	ds_load_b128 v[0:3], v218 offset:11664
	v_add_f64 v[9:10], v[27:28], -v[31:32]
	s_waitcnt lgkmcnt(0)
	s_barrier
	buffer_gl0_inv
	ds_store_b128 v218, v[193:196]
	ds_store_b128 v218, v[201:204] offset:5184
	ds_store_b128 v218, v[209:212] offset:10368
	v_fma_f64 v[6:7], v[6:7], -0.5, v[2:3]
	v_add_f64 v[2:3], v[2:3], v[27:28]
	v_fma_f64 v[4:5], v[4:5], -0.5, v[0:1]
	v_add_f64 v[0:1], v[0:1], v[25:26]
	s_delay_alu instid0(VALU_DEP_4) | instskip(NEXT) | instid1(VALU_DEP_4)
	v_fma_f64 v[158:159], v[11:12], s[8:9], v[6:7]
	v_add_f64 v[2:3], v[2:3], v[31:32]
	v_fma_f64 v[199:200], v[11:12], s[2:3], v[6:7]
	v_fma_f64 v[156:157], v[9:10], s[2:3], v[4:5]
	v_add_f64 v[0:1], v[0:1], v[29:30]
	v_fma_f64 v[197:198], v[9:10], s[8:9], v[4:5]
	v_cndmask_b32_e64 v4, 0, 0x3cc, vcc_lo
	s_delay_alu instid0(VALU_DEP_1)
	v_add_lshl_u32 v235, v35, v4, 4
	v_mad_u16 v4, 0x3cc, v36, v207
	ds_store_b128 v235, v[236:239]
	ds_store_b128 v235, v[240:243] offset:5184
	ds_store_b128 v235, v[244:247] offset:10368
	v_and_b32_e32 v4, 0xffff, v4
	s_delay_alu instid0(VALU_DEP_1)
	v_lshlrev_b32_e32 v234, 4, v4
	v_and_b32_e32 v4, 0xffff, v8
	ds_store_b128 v234, v[248:251]
	ds_store_b128 v234, v[252:255] offset:5184
	ds_store_b128 v234, v[213:216] offset:10368
	v_lshlrev_b32_e32 v233, 4, v4
	ds_store_b128 v233, v[0:3] offset:31104
	ds_store_b128 v233, v[156:159] offset:36288
	;; [unrolled: 1-line block ×3, first 2 shown]
	v_add_co_u32 v0, vcc_lo, 0x3000, v180
	v_add_co_ci_u32_e32 v1, vcc_lo, 0, v181, vcc_lo
	s_waitcnt lgkmcnt(0)
	s_barrier
	buffer_gl0_inv
	global_load_b128 v[156:159], v[0:1], off offset:3168
	ds_load_b128 v[0:3], v218 offset:15552
	ds_load_b128 v[244:247], v218 offset:3888
	s_waitcnt vmcnt(0) lgkmcnt(1)
	v_mul_f64 v[4:5], v[2:3], v[158:159]
	s_delay_alu instid0(VALU_DEP_1) | instskip(SKIP_1) | instid1(VALU_DEP_1)
	v_fma_f64 v[4:5], v[0:1], v[156:157], -v[4:5]
	v_mul_f64 v[0:1], v[0:1], v[158:159]
	v_fma_f64 v[6:7], v[2:3], v[156:157], v[0:1]
	v_add_co_u32 v0, vcc_lo, 0x3c60, v180
	v_add_co_ci_u32_e32 v1, vcc_lo, 0, v181, vcc_lo
	global_load_b128 v[180:183], v[0:1], off offset:16
	ds_load_b128 v[0:3], v218 offset:31104
	s_waitcnt vmcnt(0) lgkmcnt(0)
	v_mul_f64 v[8:9], v[2:3], v[182:183]
	s_delay_alu instid0(VALU_DEP_1) | instskip(SKIP_1) | instid1(VALU_DEP_1)
	v_fma_f64 v[8:9], v[0:1], v[180:181], -v[8:9]
	v_mul_f64 v[0:1], v[0:1], v[182:183]
	v_fma_f64 v[10:11], v[2:3], v[180:181], v[0:1]
	v_lshlrev_b32_e32 v0, 5, v192
	s_delay_alu instid0(VALU_DEP_1) | instskip(NEXT) | instid1(VALU_DEP_1)
	v_add_co_u32 v14, s12, s10, v0
	v_add_co_ci_u32_e64 v15, null, s11, 0, s12
	s_delay_alu instid0(VALU_DEP_2) | instskip(NEXT) | instid1(VALU_DEP_2)
	v_add_co_u32 v0, vcc_lo, 0x3000, v14
	v_add_co_ci_u32_e32 v1, vcc_lo, 0, v15, vcc_lo
	global_load_b128 v[192:195], v[0:1], off offset:3168
	ds_load_b128 v[0:3], v218 offset:19440
	s_waitcnt vmcnt(0) lgkmcnt(0)
	v_mul_f64 v[12:13], v[2:3], v[194:195]
	s_delay_alu instid0(VALU_DEP_1) | instskip(SKIP_1) | instid1(VALU_DEP_1)
	v_fma_f64 v[248:249], v[0:1], v[192:193], -v[12:13]
	v_mul_f64 v[0:1], v[0:1], v[194:195]
	v_fma_f64 v[250:251], v[2:3], v[192:193], v[0:1]
	v_add_co_u32 v0, vcc_lo, 0x3c60, v14
	v_add_co_ci_u32_e32 v1, vcc_lo, 0, v15, vcc_lo
	global_load_b128 v[196:199], v[0:1], off offset:16
	ds_load_b128 v[0:3], v218 offset:34992
	s_waitcnt vmcnt(0) lgkmcnt(0)
	v_mul_f64 v[16:17], v[2:3], v[198:199]
	s_delay_alu instid0(VALU_DEP_1) | instskip(SKIP_1) | instid1(VALU_DEP_1)
	v_fma_f64 v[16:17], v[0:1], v[196:197], -v[16:17]
	v_mul_f64 v[0:1], v[0:1], v[198:199]
	v_fma_f64 v[18:19], v[2:3], v[196:197], v[0:1]
	v_lshlrev_b32_e32 v0, 5, v206
	s_delay_alu instid0(VALU_DEP_1) | instskip(NEXT) | instid1(VALU_DEP_1)
	v_add_co_u32 v12, s12, s10, v0
	v_add_co_ci_u32_e64 v13, null, s11, 0, s12
	s_delay_alu instid0(VALU_DEP_2) | instskip(NEXT) | instid1(VALU_DEP_2)
	v_add_co_u32 v0, vcc_lo, 0x3000, v12
	v_add_co_ci_u32_e32 v1, vcc_lo, 0, v13, vcc_lo
	global_load_b128 v[200:203], v[0:1], off offset:3168
	;; [unrolled: 25-line block ×3, first 2 shown]
	ds_load_b128 v[0:3], v218 offset:27216
	s_waitcnt vmcnt(0) lgkmcnt(0)
	v_mul_f64 v[24:25], v[2:3], v[210:211]
	s_delay_alu instid0(VALU_DEP_1) | instskip(SKIP_1) | instid1(VALU_DEP_1)
	v_fma_f64 v[32:33], v[0:1], v[208:209], -v[24:25]
	v_mul_f64 v[0:1], v[0:1], v[210:211]
	v_fma_f64 v[34:35], v[2:3], v[208:209], v[0:1]
	v_add_co_u32 v0, vcc_lo, 0x3c60, v12
	v_add_co_ci_u32_e32 v1, vcc_lo, 0, v13, vcc_lo
	global_load_b128 v[212:215], v[0:1], off offset:16
	ds_load_b128 v[0:3], v218 offset:42768
	s_waitcnt vmcnt(0) lgkmcnt(0)
	v_mul_f64 v[24:25], v[2:3], v[214:215]
	s_delay_alu instid0(VALU_DEP_1) | instskip(SKIP_2) | instid1(VALU_DEP_2)
	v_fma_f64 v[12:13], v[0:1], v[212:213], -v[24:25]
	v_mul_f64 v[0:1], v[0:1], v[214:215]
	v_add_f64 v[24:25], v[4:5], v[8:9]
	v_fma_f64 v[14:15], v[2:3], v[212:213], v[0:1]
	ds_load_b128 v[0:3], v218
	s_waitcnt lgkmcnt(0)
	v_fma_f64 v[238:239], v[24:25], -0.5, v[0:1]
	v_add_f64 v[24:25], v[6:7], v[10:11]
	v_add_f64 v[0:1], v[0:1], v[4:5]
	s_delay_alu instid0(VALU_DEP_2) | instskip(SKIP_2) | instid1(VALU_DEP_4)
	v_fma_f64 v[242:243], v[24:25], -0.5, v[2:3]
	v_add_f64 v[2:3], v[2:3], v[6:7]
	v_add_f64 v[6:7], v[6:7], -v[10:11]
	v_add_f64 v[24:25], v[0:1], v[8:9]
	v_add_f64 v[0:1], v[4:5], -v[8:9]
	;; [unrolled: 2-line block ×3, first 2 shown]
	v_add_f64 v[26:27], v[2:3], v[10:11]
	v_add_f64 v[2:3], v[250:251], v[18:19]
	v_fma_f64 v[236:237], v[6:7], s[2:3], v[238:239]
	v_fma_f64 v[240:241], v[6:7], s[8:9], v[238:239]
	;; [unrolled: 1-line block ×4, first 2 shown]
	v_add_f64 v[0:1], v[248:249], v[16:17]
	v_add_f64 v[6:7], v[244:245], v[248:249]
	v_fma_f64 v[2:3], v[2:3], -0.5, v[246:247]
	v_add_f64 v[246:247], v[4:5], v[18:19]
	v_add_f64 v[4:5], v[248:249], -v[16:17]
	v_add_f64 v[18:19], v[22:23], -v[30:31]
	v_fma_f64 v[0:1], v[0:1], -0.5, v[244:245]
	v_add_f64 v[244:245], v[6:7], v[16:17]
	s_delay_alu instid0(VALU_DEP_4)
	v_fma_f64 v[250:251], v[4:5], s[8:9], v[2:3]
	v_fma_f64 v[254:255], v[4:5], s[2:3], v[2:3]
	v_add_f64 v[4:5], v[20:21], v[28:29]
	v_fma_f64 v[248:249], v[8:9], s[2:3], v[0:1]
	v_fma_f64 v[252:253], v[8:9], s[8:9], v[0:1]
	ds_load_b128 v[0:3], v218 offset:7776
	s_waitcnt lgkmcnt(0)
	v_fma_f64 v[8:9], v[4:5], -0.5, v[0:1]
	v_add_f64 v[4:5], v[22:23], v[30:31]
	v_add_f64 v[0:1], v[0:1], v[20:21]
	s_delay_alu instid0(VALU_DEP_3) | instskip(NEXT) | instid1(VALU_DEP_3)
	v_fma_f64 v[16:17], v[18:19], s[2:3], v[8:9]
	v_fma_f64 v[10:11], v[4:5], -0.5, v[2:3]
	s_delay_alu instid0(VALU_DEP_3)
	v_add_f64 v[4:5], v[0:1], v[28:29]
	v_add_f64 v[0:1], v[20:21], -v[28:29]
	v_add_f64 v[2:3], v[2:3], v[22:23]
	v_fma_f64 v[20:21], v[18:19], s[8:9], v[8:9]
	v_add_f64 v[8:9], v[32:33], v[12:13]
	v_add_f64 v[28:29], v[34:35], -v[14:15]
	v_fma_f64 v[18:19], v[0:1], s[8:9], v[10:11]
	v_fma_f64 v[22:23], v[0:1], s[2:3], v[10:11]
	v_add_f64 v[10:11], v[34:35], v[14:15]
	v_add_f64 v[6:7], v[2:3], v[30:31]
	ds_load_b128 v[0:3], v218 offset:11664
	v_add_f64 v[30:31], v[32:33], -v[12:13]
	s_waitcnt lgkmcnt(0)
	v_fma_f64 v[8:9], v[8:9], -0.5, v[0:1]
	v_add_f64 v[0:1], v[0:1], v[32:33]
	v_fma_f64 v[10:11], v[10:11], -0.5, v[2:3]
	v_add_f64 v[2:3], v[2:3], v[34:35]
	s_delay_alu instid0(VALU_DEP_3) | instskip(SKIP_2) | instid1(VALU_DEP_4)
	v_add_f64 v[0:1], v[0:1], v[12:13]
	v_fma_f64 v[12:13], v[28:29], s[2:3], v[8:9]
	v_fma_f64 v[8:9], v[28:29], s[8:9], v[8:9]
	v_add_f64 v[2:3], v[2:3], v[14:15]
	v_fma_f64 v[14:15], v[30:31], s[8:9], v[10:11]
	v_fma_f64 v[10:11], v[30:31], s[2:3], v[10:11]
	ds_store_b128 v218, v[244:247] offset:3888
	ds_store_b128 v218, v[4:7] offset:7776
	;; [unrolled: 1-line block ×3, first 2 shown]
	ds_store_b128 v218, v[24:27]
	ds_store_b128 v218, v[240:243] offset:31104
	ds_store_b128 v218, v[248:251] offset:19440
	;; [unrolled: 1-line block ×8, first 2 shown]
	v_add_co_u32 v0, vcc_lo, 0xb000, v219
	v_add_co_ci_u32_e32 v1, vcc_lo, 0, v220, vcc_lo
	s_waitcnt lgkmcnt(0)
	s_barrier
	buffer_gl0_inv
	global_load_b128 v[0:3], v[0:1], off offset:1600
	ds_load_b128 v[4:7], v218
	ds_load_b128 v[240:243], v218 offset:38880
	ds_load_b128 v[10:13], v218 offset:7776
	ds_load_b128 v[244:247], v218 offset:3888
	ds_load_b128 v[16:19], v218 offset:15552
	ds_load_b128 v[248:251], v218 offset:11664
	ds_load_b128 v[22:25], v218 offset:23328
	ds_load_b128 v[252:255], v218 offset:19440
	ds_load_b128 v[236:239], v218 offset:31104
	s_waitcnt vmcnt(0) lgkmcnt(8)
	v_mul_f64 v[8:9], v[6:7], v[2:3]
	v_mul_f64 v[2:3], v[4:5], v[2:3]
	s_delay_alu instid0(VALU_DEP_2) | instskip(NEXT) | instid1(VALU_DEP_2)
	v_fma_f64 v[32:33], v[4:5], v[0:1], -v[8:9]
	v_fma_f64 v[34:35], v[6:7], v[0:1], v[2:3]
	v_add_co_u32 v0, vcc_lo, 0xd000, v219
	v_add_co_ci_u32_e32 v1, vcc_lo, 0, v220, vcc_lo
	global_load_b128 v[6:9], v[0:1], off offset:1184
	s_waitcnt vmcnt(0) lgkmcnt(6)
	v_mul_f64 v[0:1], v[12:13], v[8:9]
	v_mul_f64 v[2:3], v[10:11], v[8:9]
	s_delay_alu instid0(VALU_DEP_2) | instskip(SKIP_2) | instid1(VALU_DEP_4)
	v_fma_f64 v[28:29], v[10:11], v[6:7], -v[0:1]
	v_add_co_u32 v0, vcc_lo, 0xf000, v219
	v_add_co_ci_u32_e32 v1, vcc_lo, 0, v220, vcc_lo
	v_fma_f64 v[30:31], v[12:13], v[6:7], v[2:3]
	global_load_b128 v[12:15], v[0:1], off offset:768
	s_waitcnt vmcnt(0) lgkmcnt(4)
	v_mul_f64 v[0:1], v[18:19], v[14:15]
	v_mul_f64 v[2:3], v[16:17], v[14:15]
	s_delay_alu instid0(VALU_DEP_2) | instskip(SKIP_2) | instid1(VALU_DEP_4)
	v_fma_f64 v[14:15], v[16:17], v[12:13], -v[0:1]
	v_add_co_u32 v0, vcc_lo, 0x11000, v219
	v_add_co_ci_u32_e32 v1, vcc_lo, 0, v220, vcc_lo
	v_fma_f64 v[16:17], v[18:19], v[12:13], v[2:3]
	;; [unrolled: 9-line block ×4, first 2 shown]
	global_load_b128 v[24:27], v[2:3], off offset:3616
	s_waitcnt vmcnt(0)
	v_mul_f64 v[2:3], v[242:243], v[26:27]
	v_mul_f64 v[4:5], v[240:241], v[26:27]
	s_delay_alu instid0(VALU_DEP_2) | instskip(SKIP_2) | instid1(VALU_DEP_4)
	v_fma_f64 v[240:241], v[240:241], v[24:25], -v[2:3]
	v_add_co_u32 v2, vcc_lo, 0xb640, v219
	v_add_co_ci_u32_e32 v3, vcc_lo, 0, v220, vcc_lo
	v_fma_f64 v[242:243], v[242:243], v[24:25], v[4:5]
	global_load_b128 v[24:27], v[2:3], off offset:3888
	s_waitcnt vmcnt(0)
	v_mul_f64 v[2:3], v[246:247], v[26:27]
	v_mul_f64 v[4:5], v[244:245], v[26:27]
	s_delay_alu instid0(VALU_DEP_2) | instskip(SKIP_2) | instid1(VALU_DEP_4)
	v_fma_f64 v[244:245], v[244:245], v[24:25], -v[2:3]
	v_add_co_u32 v2, vcc_lo, 0xe000, v219
	v_add_co_ci_u32_e32 v3, vcc_lo, 0, v220, vcc_lo
	v_fma_f64 v[246:247], v[246:247], v[24:25], v[4:5]
	;; [unrolled: 9-line block ×3, first 2 shown]
	global_load_b128 v[24:27], v[2:3], off offset:560
	s_waitcnt vmcnt(0)
	v_mul_f64 v[2:3], v[254:255], v[26:27]
	v_mul_f64 v[4:5], v[252:253], v[26:27]
	s_delay_alu instid0(VALU_DEP_2) | instskip(NEXT) | instid1(VALU_DEP_2)
	v_fma_f64 v[252:253], v[252:253], v[24:25], -v[2:3]
	v_fma_f64 v[254:255], v[254:255], v[24:25], v[4:5]
	global_load_b128 v[24:27], v[0:1], off offset:144
	ds_load_b128 v[0:3], v218 offset:27216
	s_waitcnt vmcnt(0) lgkmcnt(0)
	v_mul_f64 v[4:5], v[2:3], v[26:27]
	v_mul_f64 v[6:7], v[0:1], v[26:27]
	s_delay_alu instid0(VALU_DEP_2) | instskip(SKIP_2) | instid1(VALU_DEP_4)
	v_fma_f64 v[8:9], v[0:1], v[24:25], -v[4:5]
	v_add_co_u32 v0, vcc_lo, 0x13000, v219
	v_add_co_ci_u32_e32 v1, vcc_lo, 0, v220, vcc_lo
	v_fma_f64 v[10:11], v[2:3], v[24:25], v[6:7]
	ds_load_b128 v[24:27], v218 offset:34992
	global_load_b128 v[4:7], v[0:1], off offset:3824
	s_waitcnt vmcnt(0) lgkmcnt(0)
	v_mul_f64 v[0:1], v[26:27], v[6:7]
	v_mul_f64 v[2:3], v[24:25], v[6:7]
	s_delay_alu instid0(VALU_DEP_2) | instskip(SKIP_2) | instid1(VALU_DEP_4)
	v_fma_f64 v[24:25], v[24:25], v[4:5], -v[0:1]
	v_add_co_u32 v0, vcc_lo, 0x15000, v219
	v_add_co_ci_u32_e32 v1, vcc_lo, 0, v220, vcc_lo
	v_fma_f64 v[26:27], v[26:27], v[4:5], v[2:3]
	global_load_b128 v[4:7], v[0:1], off offset:3408
	ds_load_b128 v[0:3], v218 offset:42768
	s_waitcnt vmcnt(0) lgkmcnt(0)
	v_mul_f64 v[12:13], v[2:3], v[6:7]
	v_mul_f64 v[6:7], v[0:1], v[6:7]
	s_delay_alu instid0(VALU_DEP_2) | instskip(NEXT) | instid1(VALU_DEP_2)
	v_fma_f64 v[0:1], v[0:1], v[4:5], -v[12:13]
	v_fma_f64 v[2:3], v[2:3], v[4:5], v[6:7]
	ds_store_b128 v218, v[28:31] offset:7776
	ds_store_b128 v218, v[244:247] offset:3888
	;; [unrolled: 1-line block ×10, first 2 shown]
	ds_store_b128 v218, v[32:35]
	ds_store_b128 v218, v[0:3] offset:42768
	s_waitcnt lgkmcnt(0)
	s_barrier
	buffer_gl0_inv
	ds_load_b128 v[0:3], v218
	ds_load_b128 v[4:7], v218 offset:15552
	ds_load_b128 v[8:11], v218 offset:31104
	s_waitcnt lgkmcnt(1)
	v_add_f64 v[12:13], v[0:1], v[4:5]
	v_add_f64 v[14:15], v[2:3], v[6:7]
	s_waitcnt lgkmcnt(0)
	v_add_f64 v[16:17], v[4:5], v[8:9]
	v_add_f64 v[18:19], v[6:7], -v[10:11]
	v_add_f64 v[20:21], v[6:7], v[10:11]
	v_add_f64 v[22:23], v[4:5], -v[8:9]
	v_add_f64 v[24:25], v[12:13], v[8:9]
	v_add_f64 v[26:27], v[14:15], v[10:11]
	ds_load_b128 v[4:7], v218 offset:23328
	ds_load_b128 v[8:11], v218 offset:7776
	;; [unrolled: 1-line block ×3, first 2 shown]
	v_fma_f64 v[16:17], v[16:17], -0.5, v[0:1]
	v_fma_f64 v[20:21], v[20:21], -0.5, v[2:3]
	s_waitcnt lgkmcnt(1)
	v_add_f64 v[28:29], v[8:9], v[4:5]
	s_waitcnt lgkmcnt(0)
	v_add_f64 v[32:33], v[6:7], v[14:15]
	v_add_f64 v[30:31], v[10:11], v[6:7]
	;; [unrolled: 1-line block ×3, first 2 shown]
	v_add_f64 v[236:237], v[4:5], -v[12:13]
	v_add_f64 v[219:220], v[6:7], -v[14:15]
	v_add_f64 v[4:5], v[28:29], v[12:13]
	v_fma_f64 v[28:29], v[32:33], -0.5, v[10:11]
	v_add_f64 v[6:7], v[30:31], v[14:15]
	v_fma_f64 v[30:31], v[34:35], -0.5, v[8:9]
	s_delay_alu instid0(VALU_DEP_4) | instskip(NEXT) | instid1(VALU_DEP_4)
	v_add_f64 v[0:1], v[24:25], v[4:5]
	v_fma_f64 v[8:9], v[236:237], s[2:3], v[28:29]
	s_delay_alu instid0(VALU_DEP_4) | instskip(NEXT) | instid1(VALU_DEP_4)
	v_add_f64 v[2:3], v[26:27], v[6:7]
	v_fma_f64 v[12:13], v[219:220], s[8:9], v[30:31]
	v_add_f64 v[4:5], v[24:25], -v[4:5]
	v_add_f64 v[6:7], v[26:27], -v[6:7]
	v_fma_f64 v[26:27], v[22:23], s[2:3], v[20:21]
	v_fma_f64 v[22:23], v[22:23], s[8:9], v[20:21]
	v_mul_f64 v[10:11], v[8:9], s[8:9]
	v_mul_f64 v[8:9], v[8:9], 0.5
	s_delay_alu instid0(VALU_DEP_2) | instskip(NEXT) | instid1(VALU_DEP_2)
	v_fma_f64 v[14:15], v[12:13], 0.5, v[10:11]
	v_fma_f64 v[24:25], v[12:13], s[2:3], v[8:9]
	v_fma_f64 v[12:13], v[18:19], s[8:9], v[16:17]
	s_delay_alu instid0(VALU_DEP_2) | instskip(NEXT) | instid1(VALU_DEP_2)
	v_add_f64 v[10:11], v[26:27], v[24:25]
	v_add_f64 v[8:9], v[12:13], v[14:15]
	v_add_f64 v[12:13], v[12:13], -v[14:15]
	v_add_f64 v[14:15], v[26:27], -v[24:25]
	v_fma_f64 v[24:25], v[236:237], s[8:9], v[28:29]
	v_fma_f64 v[26:27], v[18:19], s[2:3], v[16:17]
	;; [unrolled: 1-line block ×3, first 2 shown]
	s_delay_alu instid0(VALU_DEP_3) | instskip(SKIP_1) | instid1(VALU_DEP_2)
	v_mul_f64 v[18:19], v[24:25], s[8:9]
	v_mul_f64 v[20:21], v[24:25], -0.5
	v_fma_f64 v[24:25], v[16:17], -0.5, v[18:19]
	s_delay_alu instid0(VALU_DEP_2) | instskip(NEXT) | instid1(VALU_DEP_2)
	v_fma_f64 v[28:29], v[16:17], s[2:3], v[20:21]
	v_add_f64 v[16:17], v[26:27], v[24:25]
	s_delay_alu instid0(VALU_DEP_2)
	v_add_f64 v[18:19], v[22:23], v[28:29]
	v_add_f64 v[20:21], v[26:27], -v[24:25]
	v_add_f64 v[22:23], v[22:23], -v[28:29]
	ds_load_b128 v[24:27], v218 offset:3888
	ds_load_b128 v[28:31], v218 offset:19440
	;; [unrolled: 1-line block ×6, first 2 shown]
	s_waitcnt lgkmcnt(0)
	s_barrier
	buffer_gl0_inv
	ds_store_b128 v222, v[0:3]
	ds_store_b128 v222, v[4:7] offset:48
	ds_store_b128 v222, v[8:11] offset:16
	;; [unrolled: 1-line block ×5, first 2 shown]
	v_add_f64 v[0:1], v[24:25], v[28:29]
	v_add_f64 v[2:3], v[26:27], v[30:31]
	;; [unrolled: 1-line block ×4, first 2 shown]
	v_add_f64 v[18:19], v[28:29], -v[244:245]
	v_add_f64 v[14:15], v[240:241], v[236:237]
	v_add_f64 v[22:23], v[240:241], -v[236:237]
	v_add_f64 v[16:17], v[30:31], -v[246:247]
	v_add_f64 v[6:7], v[30:31], v[246:247]
	v_add_f64 v[20:21], v[242:243], -v[238:239]
	v_add_f64 v[8:9], v[0:1], v[244:245]
	v_add_f64 v[0:1], v[32:33], v[240:241]
	;; [unrolled: 1-line block ×4, first 2 shown]
	v_fma_f64 v[34:35], v[12:13], -0.5, v[34:35]
	v_fma_f64 v[24:25], v[4:5], -0.5, v[24:25]
	v_fma_f64 v[32:33], v[14:15], -0.5, v[32:33]
	v_fma_f64 v[26:27], v[6:7], -0.5, v[26:27]
	v_add_f64 v[28:29], v[0:1], v[236:237]
	v_add_f64 v[30:31], v[2:3], v[238:239]
	s_delay_alu instid0(VALU_DEP_4) | instskip(NEXT) | instid1(VALU_DEP_3)
	v_fma_f64 v[12:13], v[20:21], s[8:9], v[32:33]
	v_add_f64 v[0:1], v[8:9], v[28:29]
	v_add_f64 v[4:5], v[8:9], -v[28:29]
	v_fma_f64 v[8:9], v[22:23], s[2:3], v[34:35]
	v_add_f64 v[2:3], v[10:11], v[30:31]
	v_add_f64 v[6:7], v[10:11], -v[30:31]
	v_fma_f64 v[22:23], v[22:23], s[8:9], v[34:35]
	v_fma_f64 v[30:31], v[18:19], s[2:3], v[26:27]
	;; [unrolled: 1-line block ×3, first 2 shown]
	v_mul_f64 v[10:11], v[8:9], s[8:9]
	v_mul_f64 v[8:9], v[8:9], 0.5
	v_mul_f64 v[18:19], v[22:23], s[8:9]
	s_delay_alu instid0(VALU_DEP_3) | instskip(NEXT) | instid1(VALU_DEP_3)
	v_fma_f64 v[14:15], v[12:13], 0.5, v[10:11]
	v_fma_f64 v[28:29], v[12:13], s[2:3], v[8:9]
	v_fma_f64 v[12:13], v[16:17], s[8:9], v[24:25]
	;; [unrolled: 1-line block ×4, first 2 shown]
	v_mul_f64 v[20:21], v[22:23], -0.5
	v_add_f64 v[10:11], v[30:31], v[28:29]
	v_add_f64 v[8:9], v[12:13], v[14:15]
	v_add_f64 v[12:13], v[12:13], -v[14:15]
	v_add_f64 v[14:15], v[30:31], -v[28:29]
	v_fma_f64 v[22:23], v[16:17], -0.5, v[18:19]
	v_fma_f64 v[28:29], v[16:17], s[2:3], v[20:21]
	s_delay_alu instid0(VALU_DEP_2) | instskip(NEXT) | instid1(VALU_DEP_2)
	v_add_f64 v[16:17], v[24:25], v[22:23]
	v_add_f64 v[18:19], v[26:27], v[28:29]
	v_add_f64 v[20:21], v[24:25], -v[22:23]
	v_add_f64 v[22:23], v[26:27], -v[28:29]
	ds_store_b128 v221, v[0:3]
	ds_store_b128 v221, v[8:11] offset:16
	ds_store_b128 v221, v[16:19] offset:32
	ds_store_b128 v221, v[4:7] offset:48
	ds_store_b128 v221, v[12:15] offset:64
	ds_store_b128 v221, v[20:23] offset:80
	s_waitcnt lgkmcnt(0)
	s_barrier
	buffer_gl0_inv
	ds_load_b128 v[0:3], v218 offset:7776
	s_waitcnt lgkmcnt(0)
	v_mul_f64 v[4:5], v[70:71], v[2:3]
	s_delay_alu instid0(VALU_DEP_1) | instskip(SKIP_1) | instid1(VALU_DEP_1)
	v_fma_f64 v[8:9], v[68:69], v[0:1], v[4:5]
	v_mul_f64 v[0:1], v[70:71], v[0:1]
	v_fma_f64 v[10:11], v[68:69], v[2:3], -v[0:1]
	ds_load_b128 v[0:3], v218 offset:15552
	s_waitcnt lgkmcnt(0)
	v_mul_f64 v[4:5], v[74:75], v[2:3]
	s_delay_alu instid0(VALU_DEP_1) | instskip(SKIP_1) | instid1(VALU_DEP_1)
	v_fma_f64 v[12:13], v[72:73], v[0:1], v[4:5]
	v_mul_f64 v[0:1], v[74:75], v[0:1]
	v_fma_f64 v[14:15], v[72:73], v[2:3], -v[0:1]
	;; [unrolled: 7-line block ×9, first 2 shown]
	ds_load_b128 v[0:3], v218 offset:42768
	s_waitcnt lgkmcnt(0)
	v_mul_f64 v[4:5], v[54:55], v[2:3]
	s_delay_alu instid0(VALU_DEP_1) | instskip(SKIP_2) | instid1(VALU_DEP_2)
	v_fma_f64 v[60:61], v[52:53], v[0:1], v[4:5]
	v_mul_f64 v[0:1], v[54:55], v[0:1]
	v_add_f64 v[4:5], v[12:13], v[20:21]
	v_fma_f64 v[52:53], v[52:53], v[2:3], -v[0:1]
	ds_load_b128 v[0:3], v218
	s_waitcnt lgkmcnt(0)
	v_fma_f64 v[54:55], v[4:5], -0.5, v[0:1]
	v_add_f64 v[4:5], v[14:15], v[22:23]
	v_add_f64 v[0:1], v[0:1], v[12:13]
	s_delay_alu instid0(VALU_DEP_2) | instskip(NEXT) | instid1(VALU_DEP_2)
	v_fma_f64 v[62:63], v[4:5], -0.5, v[2:3]
	v_add_f64 v[4:5], v[0:1], v[20:21]
	v_add_f64 v[0:1], v[8:9], v[16:17]
	;; [unrolled: 1-line block ×3, first 2 shown]
	v_add_f64 v[20:21], v[12:13], -v[20:21]
	s_delay_alu instid0(VALU_DEP_3) | instskip(SKIP_1) | instid1(VALU_DEP_4)
	v_add_f64 v[64:65], v[0:1], v[24:25]
	v_add_f64 v[0:1], v[10:11], v[18:19]
	;; [unrolled: 1-line block ×3, first 2 shown]
	v_add_f64 v[22:23], v[14:15], -v[22:23]
	s_delay_alu instid0(VALU_DEP_3)
	v_add_f64 v[66:67], v[0:1], v[26:27]
	v_add_f64 v[0:1], v[4:5], v[64:65]
	v_add_f64 v[4:5], v[4:5], -v[64:65]
	v_add_f64 v[64:65], v[16:17], v[24:25]
	v_add_f64 v[16:17], v[16:17], -v[24:25]
	;; [unrolled: 2-line block ×4, first 2 shown]
	v_fma_f64 v[66:67], v[20:21], s[2:3], v[62:63]
	v_fma_f64 v[26:27], v[64:65], -0.5, v[8:9]
	v_fma_f64 v[24:25], v[24:25], -0.5, v[10:11]
	s_delay_alu instid0(VALU_DEP_2) | instskip(SKIP_1) | instid1(VALU_DEP_3)
	v_fma_f64 v[12:13], v[18:19], s[8:9], v[26:27]
	v_fma_f64 v[18:19], v[18:19], s[2:3], v[26:27]
	v_fma_f64 v[8:9], v[16:17], s[2:3], v[24:25]
	v_fma_f64 v[16:17], v[16:17], s[8:9], v[24:25]
	v_fma_f64 v[24:25], v[20:21], s[8:9], v[62:63]
	s_delay_alu instid0(VALU_DEP_3) | instskip(SKIP_1) | instid1(VALU_DEP_4)
	v_mul_f64 v[10:11], v[8:9], s[8:9]
	v_mul_f64 v[8:9], v[8:9], 0.5
	v_mul_f64 v[20:21], v[16:17], s[8:9]
	v_mul_f64 v[16:17], v[16:17], -0.5
	s_delay_alu instid0(VALU_DEP_4) | instskip(NEXT) | instid1(VALU_DEP_4)
	v_fma_f64 v[14:15], v[12:13], 0.5, v[10:11]
	v_fma_f64 v[64:65], v[12:13], s[2:3], v[8:9]
	v_fma_f64 v[12:13], v[22:23], s[8:9], v[54:55]
	;; [unrolled: 1-line block ×3, first 2 shown]
	v_fma_f64 v[20:21], v[18:19], -0.5, v[20:21]
	v_fma_f64 v[26:27], v[18:19], s[2:3], v[16:17]
	v_add_f64 v[10:11], v[66:67], v[64:65]
	v_add_f64 v[8:9], v[12:13], v[14:15]
	v_add_f64 v[12:13], v[12:13], -v[14:15]
	v_add_f64 v[16:17], v[22:23], v[20:21]
	v_add_f64 v[18:19], v[24:25], v[26:27]
	v_add_f64 v[14:15], v[66:67], -v[64:65]
	v_add_f64 v[20:21], v[22:23], -v[20:21]
	;; [unrolled: 1-line block ×3, first 2 shown]
	ds_load_b128 v[24:27], v218 offset:3888
	s_waitcnt lgkmcnt(0)
	s_barrier
	buffer_gl0_inv
	ds_store_b128 v224, v[0:3]
	ds_store_b128 v224, v[4:7] offset:288
	ds_store_b128 v224, v[8:11] offset:96
	;; [unrolled: 1-line block ×5, first 2 shown]
	v_add_f64 v[0:1], v[32:33], v[56:57]
	v_add_f64 v[2:3], v[26:27], v[34:35]
	v_add_f64 v[20:21], v[48:49], -v[60:61]
	s_delay_alu instid0(VALU_DEP_3) | instskip(SKIP_1) | instid1(VALU_DEP_4)
	v_fma_f64 v[16:17], v[0:1], -0.5, v[24:25]
	v_add_f64 v[0:1], v[34:35], v[58:59]
	v_add_f64 v[6:7], v[2:3], v[58:59]
	s_delay_alu instid0(VALU_DEP_2) | instskip(SKIP_3) | instid1(VALU_DEP_3)
	v_fma_f64 v[18:19], v[0:1], -0.5, v[26:27]
	v_add_f64 v[0:1], v[24:25], v[32:33]
	v_add_f64 v[26:27], v[50:51], -v[52:53]
	v_add_f64 v[24:25], v[32:33], -v[56:57]
	v_add_f64 v[4:5], v[0:1], v[56:57]
	v_add_f64 v[0:1], v[28:29], v[48:49]
	s_delay_alu instid0(VALU_DEP_1) | instskip(SKIP_1) | instid1(VALU_DEP_1)
	v_add_f64 v[8:9], v[0:1], v[60:61]
	v_add_f64 v[0:1], v[30:31], v[50:51]
	v_add_f64 v[10:11], v[0:1], v[52:53]
	s_delay_alu instid0(VALU_DEP_3) | instskip(SKIP_2) | instid1(VALU_DEP_4)
	v_add_f64 v[0:1], v[4:5], v[8:9]
	v_add_f64 v[4:5], v[4:5], -v[8:9]
	v_add_f64 v[8:9], v[48:49], v[60:61]
	v_add_f64 v[2:3], v[6:7], v[10:11]
	v_add_f64 v[6:7], v[6:7], -v[10:11]
	v_add_f64 v[10:11], v[50:51], v[52:53]
	s_delay_alu instid0(VALU_DEP_4) | instskip(NEXT) | instid1(VALU_DEP_2)
	v_fma_f64 v[28:29], v[8:9], -0.5, v[28:29]
	v_fma_f64 v[22:23], v[10:11], -0.5, v[30:31]
	v_add_f64 v[30:31], v[34:35], -v[58:59]
	s_delay_alu instid0(VALU_DEP_3)
	v_fma_f64 v[12:13], v[26:27], s[8:9], v[28:29]
	v_fma_f64 v[34:35], v[24:25], s[2:3], v[18:19]
	;; [unrolled: 1-line block ×7, first 2 shown]
	s_delay_alu instid0(VALU_DEP_4) | instskip(SKIP_2) | instid1(VALU_DEP_3)
	v_mul_f64 v[10:11], v[8:9], s[8:9]
	v_mul_f64 v[8:9], v[8:9], 0.5
	v_mul_f64 v[18:19], v[20:21], -0.5
	v_fma_f64 v[14:15], v[12:13], 0.5, v[10:11]
	s_delay_alu instid0(VALU_DEP_3) | instskip(SKIP_2) | instid1(VALU_DEP_3)
	v_fma_f64 v[32:33], v[12:13], s[2:3], v[8:9]
	v_fma_f64 v[12:13], v[30:31], s[8:9], v[16:17]
	v_mul_f64 v[16:17], v[20:21], s[8:9]
	v_add_f64 v[10:11], v[34:35], v[32:33]
	s_delay_alu instid0(VALU_DEP_3) | instskip(NEXT) | instid1(VALU_DEP_3)
	v_add_f64 v[8:9], v[12:13], v[14:15]
	v_fma_f64 v[20:21], v[22:23], -0.5, v[16:17]
	v_fma_f64 v[22:23], v[22:23], s[2:3], v[18:19]
	v_add_f64 v[12:13], v[12:13], -v[14:15]
	v_add_f64 v[14:15], v[34:35], -v[32:33]
	s_delay_alu instid0(VALU_DEP_4) | instskip(NEXT) | instid1(VALU_DEP_4)
	v_add_f64 v[16:17], v[26:27], v[20:21]
	v_add_f64 v[18:19], v[24:25], v[22:23]
	v_add_f64 v[20:21], v[26:27], -v[20:21]
	v_add_f64 v[22:23], v[24:25], -v[22:23]
	ds_store_b128 v223, v[0:3]
	ds_store_b128 v223, v[8:11] offset:96
	ds_store_b128 v223, v[16:19] offset:192
	;; [unrolled: 1-line block ×5, first 2 shown]
	s_waitcnt lgkmcnt(0)
	s_barrier
	buffer_gl0_inv
	ds_load_b128 v[0:3], v218 offset:15552
	s_waitcnt lgkmcnt(0)
	v_mul_f64 v[4:5], v[90:91], v[2:3]
	s_delay_alu instid0(VALU_DEP_1) | instskip(SKIP_1) | instid1(VALU_DEP_1)
	v_fma_f64 v[4:5], v[88:89], v[0:1], v[4:5]
	v_mul_f64 v[0:1], v[90:91], v[0:1]
	v_fma_f64 v[6:7], v[88:89], v[2:3], -v[0:1]
	ds_load_b128 v[0:3], v218 offset:31104
	s_waitcnt lgkmcnt(0)
	v_mul_f64 v[8:9], v[94:95], v[2:3]
	s_delay_alu instid0(VALU_DEP_1) | instskip(SKIP_1) | instid1(VALU_DEP_1)
	v_fma_f64 v[8:9], v[92:93], v[0:1], v[8:9]
	v_mul_f64 v[0:1], v[94:95], v[0:1]
	v_fma_f64 v[10:11], v[92:93], v[2:3], -v[0:1]
	ds_load_b128 v[0:3], v218 offset:19440
	s_waitcnt lgkmcnt(0)
	v_mul_f64 v[12:13], v[98:99], v[2:3]
	v_add_f64 v[14:15], v[6:7], v[10:11]
	s_delay_alu instid0(VALU_DEP_2) | instskip(SKIP_1) | instid1(VALU_DEP_1)
	v_fma_f64 v[24:25], v[96:97], v[0:1], v[12:13]
	v_mul_f64 v[0:1], v[98:99], v[0:1]
	v_fma_f64 v[26:27], v[96:97], v[2:3], -v[0:1]
	ds_load_b128 v[0:3], v218 offset:34992
	s_waitcnt lgkmcnt(0)
	v_mul_f64 v[12:13], v[102:103], v[2:3]
	s_delay_alu instid0(VALU_DEP_1) | instskip(SKIP_1) | instid1(VALU_DEP_1)
	v_fma_f64 v[28:29], v[100:101], v[0:1], v[12:13]
	v_mul_f64 v[0:1], v[102:103], v[0:1]
	v_fma_f64 v[30:31], v[100:101], v[2:3], -v[0:1]
	ds_load_b128 v[0:3], v218 offset:23328
	s_waitcnt lgkmcnt(0)
	v_mul_f64 v[12:13], v[106:107], v[2:3]
	s_delay_alu instid0(VALU_DEP_1) | instskip(SKIP_1) | instid1(VALU_DEP_1)
	;; [unrolled: 7-line block ×4, first 2 shown]
	v_fma_f64 v[52:53], v[112:113], v[0:1], v[12:13]
	v_mul_f64 v[0:1], v[114:115], v[0:1]
	v_fma_f64 v[54:55], v[112:113], v[2:3], -v[0:1]
	ds_load_b128 v[0:3], v218 offset:42768
	s_waitcnt lgkmcnt(0)
	v_mul_f64 v[12:13], v[118:119], v[2:3]
	s_delay_alu instid0(VALU_DEP_1) | instskip(SKIP_2) | instid1(VALU_DEP_2)
	v_fma_f64 v[56:57], v[116:117], v[0:1], v[12:13]
	v_mul_f64 v[0:1], v[118:119], v[0:1]
	v_add_f64 v[12:13], v[4:5], v[8:9]
	v_fma_f64 v[58:59], v[116:117], v[2:3], -v[0:1]
	ds_load_b128 v[0:3], v218
	s_waitcnt lgkmcnt(0)
	v_fma_f64 v[14:15], v[14:15], -0.5, v[2:3]
	v_add_f64 v[2:3], v[2:3], v[6:7]
	v_fma_f64 v[12:13], v[12:13], -0.5, v[0:1]
	v_add_f64 v[0:1], v[0:1], v[4:5]
	v_add_f64 v[6:7], v[6:7], -v[10:11]
	s_delay_alu instid0(VALU_DEP_4) | instskip(SKIP_1) | instid1(VALU_DEP_4)
	v_add_f64 v[2:3], v[2:3], v[10:11]
	v_add_f64 v[10:11], v[4:5], -v[8:9]
	v_add_f64 v[0:1], v[0:1], v[8:9]
	s_delay_alu instid0(VALU_DEP_4) | instskip(SKIP_1) | instid1(VALU_DEP_4)
	v_fma_f64 v[4:5], v[6:7], s[8:9], v[12:13]
	v_fma_f64 v[8:9], v[6:7], s[2:3], v[12:13]
	;; [unrolled: 1-line block ×4, first 2 shown]
	ds_load_b128 v[12:15], v218 offset:11664
	ds_load_b128 v[16:19], v218 offset:3888
	;; [unrolled: 1-line block ×3, first 2 shown]
	s_waitcnt lgkmcnt(0)
	s_barrier
	buffer_gl0_inv
	ds_store_b128 v39, v[0:3]
	ds_store_b128 v39, v[4:7] offset:576
	ds_store_b128 v39, v[8:11] offset:1152
	v_add_f64 v[0:1], v[24:25], v[28:29]
	v_add_f64 v[4:5], v[16:17], v[24:25]
	v_add_f64 v[8:9], v[26:27], -v[30:31]
	s_delay_alu instid0(VALU_DEP_3) | instskip(SKIP_2) | instid1(VALU_DEP_2)
	v_fma_f64 v[6:7], v[0:1], -0.5, v[16:17]
	v_add_f64 v[0:1], v[26:27], v[30:31]
	v_add_f64 v[16:17], v[24:25], -v[28:29]
	v_fma_f64 v[10:11], v[0:1], -0.5, v[18:19]
	v_add_f64 v[0:1], v[18:19], v[26:27]
	s_delay_alu instid0(VALU_DEP_1)
	v_add_f64 v[2:3], v[0:1], v[30:31]
	v_add_f64 v[0:1], v[4:5], v[28:29]
	v_fma_f64 v[4:5], v[8:9], s[8:9], v[6:7]
	v_fma_f64 v[8:9], v[8:9], s[2:3], v[6:7]
	;; [unrolled: 1-line block ×4, first 2 shown]
	scratch_load_b32 v16, off, off offset:140 ; 4-byte Folded Reload
	s_waitcnt vmcnt(0)
	ds_store_b128 v16, v[0:3]
	ds_store_b128 v16, v[4:7] offset:576
	ds_store_b128 v16, v[8:11] offset:1152
	v_add_f64 v[0:1], v[32:33], v[48:49]
	v_add_f64 v[4:5], v[20:21], v[32:33]
	v_add_f64 v[8:9], v[34:35], -v[50:51]
	v_add_f64 v[16:17], v[32:33], -v[48:49]
	s_delay_alu instid0(VALU_DEP_4) | instskip(SKIP_1) | instid1(VALU_DEP_1)
	v_fma_f64 v[6:7], v[0:1], -0.5, v[20:21]
	v_add_f64 v[0:1], v[34:35], v[50:51]
	v_fma_f64 v[10:11], v[0:1], -0.5, v[22:23]
	v_add_f64 v[0:1], v[22:23], v[34:35]
	s_delay_alu instid0(VALU_DEP_1)
	v_add_f64 v[2:3], v[0:1], v[50:51]
	v_add_f64 v[0:1], v[4:5], v[48:49]
	v_fma_f64 v[4:5], v[8:9], s[8:9], v[6:7]
	v_fma_f64 v[8:9], v[8:9], s[2:3], v[6:7]
	;; [unrolled: 1-line block ×4, first 2 shown]
	ds_store_b128 v38, v[0:3]
	ds_store_b128 v38, v[4:7] offset:576
	ds_store_b128 v38, v[8:11] offset:1152
	v_add_f64 v[0:1], v[52:53], v[56:57]
	v_add_f64 v[4:5], v[12:13], v[52:53]
	v_add_f64 v[8:9], v[54:55], -v[58:59]
	s_delay_alu instid0(VALU_DEP_3) | instskip(SKIP_2) | instid1(VALU_DEP_2)
	v_fma_f64 v[6:7], v[0:1], -0.5, v[12:13]
	v_add_f64 v[0:1], v[54:55], v[58:59]
	v_add_f64 v[12:13], v[52:53], -v[56:57]
	v_fma_f64 v[10:11], v[0:1], -0.5, v[14:15]
	v_add_f64 v[0:1], v[14:15], v[54:55]
	s_delay_alu instid0(VALU_DEP_1)
	v_add_f64 v[2:3], v[0:1], v[58:59]
	v_add_f64 v[0:1], v[4:5], v[56:57]
	v_fma_f64 v[4:5], v[8:9], s[8:9], v[6:7]
	v_fma_f64 v[8:9], v[8:9], s[2:3], v[6:7]
	;; [unrolled: 1-line block ×4, first 2 shown]
	ds_store_b128 v37, v[0:3]
	ds_store_b128 v37, v[4:7] offset:576
	ds_store_b128 v37, v[8:11] offset:1152
	s_waitcnt lgkmcnt(0)
	s_barrier
	buffer_gl0_inv
	ds_load_b128 v[0:3], v218 offset:15552
	s_waitcnt lgkmcnt(0)
	v_mul_f64 v[4:5], v[122:123], v[2:3]
	s_delay_alu instid0(VALU_DEP_1) | instskip(SKIP_1) | instid1(VALU_DEP_1)
	v_fma_f64 v[4:5], v[120:121], v[0:1], v[4:5]
	v_mul_f64 v[0:1], v[122:123], v[0:1]
	v_fma_f64 v[6:7], v[120:121], v[2:3], -v[0:1]
	ds_load_b128 v[0:3], v218 offset:31104
	s_waitcnt lgkmcnt(0)
	v_mul_f64 v[8:9], v[126:127], v[2:3]
	s_delay_alu instid0(VALU_DEP_1) | instskip(SKIP_1) | instid1(VALU_DEP_1)
	v_fma_f64 v[8:9], v[124:125], v[0:1], v[8:9]
	v_mul_f64 v[0:1], v[126:127], v[0:1]
	v_fma_f64 v[10:11], v[124:125], v[2:3], -v[0:1]
	ds_load_b128 v[0:3], v218 offset:19440
	s_waitcnt lgkmcnt(0)
	v_mul_f64 v[12:13], v[130:131], v[2:3]
	v_add_f64 v[14:15], v[6:7], v[10:11]
	s_delay_alu instid0(VALU_DEP_2) | instskip(SKIP_1) | instid1(VALU_DEP_1)
	v_fma_f64 v[24:25], v[128:129], v[0:1], v[12:13]
	v_mul_f64 v[0:1], v[130:131], v[0:1]
	v_fma_f64 v[26:27], v[128:129], v[2:3], -v[0:1]
	ds_load_b128 v[0:3], v218 offset:34992
	s_waitcnt lgkmcnt(0)
	v_mul_f64 v[12:13], v[134:135], v[2:3]
	s_delay_alu instid0(VALU_DEP_1) | instskip(SKIP_1) | instid1(VALU_DEP_1)
	v_fma_f64 v[28:29], v[132:133], v[0:1], v[12:13]
	v_mul_f64 v[0:1], v[134:135], v[0:1]
	v_fma_f64 v[30:31], v[132:133], v[2:3], -v[0:1]
	ds_load_b128 v[0:3], v218 offset:23328
	s_waitcnt lgkmcnt(0)
	v_mul_f64 v[12:13], v[138:139], v[2:3]
	s_delay_alu instid0(VALU_DEP_1) | instskip(SKIP_1) | instid1(VALU_DEP_1)
	;; [unrolled: 7-line block ×4, first 2 shown]
	v_fma_f64 v[52:53], v[144:145], v[0:1], v[12:13]
	v_mul_f64 v[0:1], v[146:147], v[0:1]
	v_fma_f64 v[54:55], v[144:145], v[2:3], -v[0:1]
	ds_load_b128 v[0:3], v218 offset:42768
	s_waitcnt lgkmcnt(0)
	v_mul_f64 v[12:13], v[150:151], v[2:3]
	s_delay_alu instid0(VALU_DEP_1) | instskip(SKIP_2) | instid1(VALU_DEP_2)
	v_fma_f64 v[56:57], v[148:149], v[0:1], v[12:13]
	v_mul_f64 v[0:1], v[150:151], v[0:1]
	v_add_f64 v[12:13], v[4:5], v[8:9]
	v_fma_f64 v[58:59], v[148:149], v[2:3], -v[0:1]
	ds_load_b128 v[0:3], v218
	s_waitcnt lgkmcnt(0)
	v_fma_f64 v[14:15], v[14:15], -0.5, v[2:3]
	v_add_f64 v[2:3], v[2:3], v[6:7]
	v_fma_f64 v[12:13], v[12:13], -0.5, v[0:1]
	v_add_f64 v[0:1], v[0:1], v[4:5]
	v_add_f64 v[6:7], v[6:7], -v[10:11]
	s_delay_alu instid0(VALU_DEP_4) | instskip(SKIP_1) | instid1(VALU_DEP_4)
	v_add_f64 v[2:3], v[2:3], v[10:11]
	v_add_f64 v[10:11], v[4:5], -v[8:9]
	v_add_f64 v[0:1], v[0:1], v[8:9]
	s_delay_alu instid0(VALU_DEP_4) | instskip(SKIP_1) | instid1(VALU_DEP_4)
	v_fma_f64 v[4:5], v[6:7], s[8:9], v[12:13]
	v_fma_f64 v[8:9], v[6:7], s[2:3], v[12:13]
	;; [unrolled: 1-line block ×4, first 2 shown]
	ds_load_b128 v[12:15], v218 offset:11664
	ds_load_b128 v[16:19], v218 offset:3888
	;; [unrolled: 1-line block ×3, first 2 shown]
	s_waitcnt lgkmcnt(0)
	s_barrier
	buffer_gl0_inv
	scratch_load_b32 v36, off, off offset:152 ; 4-byte Folded Reload
	s_waitcnt vmcnt(0)
	ds_store_b128 v36, v[0:3]
	ds_store_b128 v36, v[4:7] offset:1728
	ds_store_b128 v36, v[8:11] offset:3456
	v_add_f64 v[0:1], v[24:25], v[28:29]
	v_add_f64 v[4:5], v[16:17], v[24:25]
	v_add_f64 v[8:9], v[26:27], -v[30:31]
	s_delay_alu instid0(VALU_DEP_3) | instskip(SKIP_2) | instid1(VALU_DEP_2)
	v_fma_f64 v[6:7], v[0:1], -0.5, v[16:17]
	v_add_f64 v[0:1], v[26:27], v[30:31]
	v_add_f64 v[16:17], v[24:25], -v[28:29]
	v_fma_f64 v[10:11], v[0:1], -0.5, v[18:19]
	v_add_f64 v[0:1], v[18:19], v[26:27]
	s_delay_alu instid0(VALU_DEP_1)
	v_add_f64 v[2:3], v[0:1], v[30:31]
	v_add_f64 v[0:1], v[4:5], v[28:29]
	v_fma_f64 v[4:5], v[8:9], s[8:9], v[6:7]
	v_fma_f64 v[8:9], v[8:9], s[2:3], v[6:7]
	;; [unrolled: 1-line block ×4, first 2 shown]
	scratch_load_b32 v16, off, off offset:148 ; 4-byte Folded Reload
	s_waitcnt vmcnt(0)
	ds_store_b128 v16, v[0:3]
	ds_store_b128 v16, v[4:7] offset:1728
	ds_store_b128 v16, v[8:11] offset:3456
	v_add_f64 v[0:1], v[32:33], v[48:49]
	v_add_f64 v[4:5], v[20:21], v[32:33]
	v_add_f64 v[8:9], v[34:35], -v[50:51]
	v_add_f64 v[16:17], v[32:33], -v[48:49]
	s_delay_alu instid0(VALU_DEP_4) | instskip(SKIP_1) | instid1(VALU_DEP_1)
	v_fma_f64 v[6:7], v[0:1], -0.5, v[20:21]
	v_add_f64 v[0:1], v[34:35], v[50:51]
	v_fma_f64 v[10:11], v[0:1], -0.5, v[22:23]
	v_add_f64 v[0:1], v[22:23], v[34:35]
	s_delay_alu instid0(VALU_DEP_1)
	v_add_f64 v[2:3], v[0:1], v[50:51]
	v_add_f64 v[0:1], v[4:5], v[48:49]
	v_fma_f64 v[4:5], v[8:9], s[8:9], v[6:7]
	v_fma_f64 v[8:9], v[8:9], s[2:3], v[6:7]
	;; [unrolled: 1-line block ×4, first 2 shown]
	scratch_load_b32 v16, off, off offset:144 ; 4-byte Folded Reload
	s_waitcnt vmcnt(0)
	ds_store_b128 v16, v[0:3]
	ds_store_b128 v16, v[4:7] offset:1728
	ds_store_b128 v16, v[8:11] offset:3456
	v_add_f64 v[0:1], v[52:53], v[56:57]
	v_add_f64 v[4:5], v[12:13], v[52:53]
	v_add_f64 v[8:9], v[54:55], -v[58:59]
	s_delay_alu instid0(VALU_DEP_3) | instskip(SKIP_2) | instid1(VALU_DEP_2)
	v_fma_f64 v[6:7], v[0:1], -0.5, v[12:13]
	v_add_f64 v[0:1], v[54:55], v[58:59]
	v_add_f64 v[12:13], v[52:53], -v[56:57]
	v_fma_f64 v[10:11], v[0:1], -0.5, v[14:15]
	v_add_f64 v[0:1], v[14:15], v[54:55]
	s_delay_alu instid0(VALU_DEP_1)
	v_add_f64 v[2:3], v[0:1], v[58:59]
	v_add_f64 v[0:1], v[4:5], v[56:57]
	v_fma_f64 v[4:5], v[8:9], s[8:9], v[6:7]
	v_fma_f64 v[8:9], v[8:9], s[2:3], v[6:7]
	;; [unrolled: 1-line block ×4, first 2 shown]
	ds_store_b128 v217, v[0:3]
	ds_store_b128 v217, v[4:7] offset:1728
	ds_store_b128 v217, v[8:11] offset:3456
	s_waitcnt lgkmcnt(0)
	s_barrier
	buffer_gl0_inv
	ds_load_b128 v[0:3], v218 offset:15552
	s_waitcnt lgkmcnt(0)
	v_mul_f64 v[4:5], v[154:155], v[2:3]
	s_delay_alu instid0(VALU_DEP_1) | instskip(SKIP_1) | instid1(VALU_DEP_1)
	v_fma_f64 v[4:5], v[152:153], v[0:1], v[4:5]
	v_mul_f64 v[0:1], v[154:155], v[0:1]
	v_fma_f64 v[6:7], v[152:153], v[2:3], -v[0:1]
	ds_load_b128 v[0:3], v218 offset:31104
	s_waitcnt lgkmcnt(0)
	v_mul_f64 v[8:9], v[162:163], v[2:3]
	s_delay_alu instid0(VALU_DEP_1) | instskip(SKIP_1) | instid1(VALU_DEP_1)
	v_fma_f64 v[8:9], v[160:161], v[0:1], v[8:9]
	v_mul_f64 v[0:1], v[162:163], v[0:1]
	v_fma_f64 v[10:11], v[160:161], v[2:3], -v[0:1]
	ds_load_b128 v[0:3], v218 offset:19440
	s_waitcnt lgkmcnt(0)
	v_mul_f64 v[12:13], v[166:167], v[2:3]
	v_add_f64 v[14:15], v[6:7], v[10:11]
	s_delay_alu instid0(VALU_DEP_2) | instskip(SKIP_1) | instid1(VALU_DEP_1)
	v_fma_f64 v[16:17], v[164:165], v[0:1], v[12:13]
	v_mul_f64 v[0:1], v[166:167], v[0:1]
	v_fma_f64 v[18:19], v[164:165], v[2:3], -v[0:1]
	ds_load_b128 v[0:3], v218 offset:34992
	s_waitcnt lgkmcnt(0)
	v_mul_f64 v[12:13], v[170:171], v[2:3]
	s_delay_alu instid0(VALU_DEP_1) | instskip(SKIP_1) | instid1(VALU_DEP_2)
	v_fma_f64 v[20:21], v[168:169], v[0:1], v[12:13]
	v_mul_f64 v[0:1], v[170:171], v[0:1]
	v_add_f64 v[24:25], v[16:17], v[20:21]
	s_delay_alu instid0(VALU_DEP_2) | instskip(SKIP_4) | instid1(VALU_DEP_2)
	v_fma_f64 v[22:23], v[168:169], v[2:3], -v[0:1]
	ds_load_b128 v[0:3], v218 offset:23328
	s_waitcnt lgkmcnt(0)
	v_mul_f64 v[12:13], v[174:175], v[2:3]
	v_add_f64 v[26:27], v[18:19], v[22:23]
	v_fma_f64 v[32:33], v[172:173], v[0:1], v[12:13]
	v_mul_f64 v[0:1], v[174:175], v[0:1]
	s_delay_alu instid0(VALU_DEP_1) | instskip(SKIP_3) | instid1(VALU_DEP_1)
	v_fma_f64 v[34:35], v[172:173], v[2:3], -v[0:1]
	ds_load_b128 v[0:3], v218 offset:38880
	s_waitcnt lgkmcnt(0)
	v_mul_f64 v[12:13], v[178:179], v[2:3]
	v_fma_f64 v[48:49], v[176:177], v[0:1], v[12:13]
	v_mul_f64 v[0:1], v[178:179], v[0:1]
	s_delay_alu instid0(VALU_DEP_1) | instskip(SKIP_3) | instid1(VALU_DEP_1)
	v_fma_f64 v[50:51], v[176:177], v[2:3], -v[0:1]
	ds_load_b128 v[0:3], v218 offset:27216
	s_waitcnt lgkmcnt(0)
	v_mul_f64 v[12:13], v[186:187], v[2:3]
	;; [unrolled: 7-line block ×3, first 2 shown]
	v_fma_f64 v[56:57], v[188:189], v[0:1], v[12:13]
	v_mul_f64 v[0:1], v[190:191], v[0:1]
	v_add_f64 v[12:13], v[4:5], v[8:9]
	s_delay_alu instid0(VALU_DEP_2)
	v_fma_f64 v[58:59], v[188:189], v[2:3], -v[0:1]
	ds_load_b128 v[0:3], v218
	s_waitcnt lgkmcnt(0)
	v_fma_f64 v[14:15], v[14:15], -0.5, v[2:3]
	v_add_f64 v[2:3], v[2:3], v[6:7]
	v_fma_f64 v[12:13], v[12:13], -0.5, v[0:1]
	v_add_f64 v[0:1], v[0:1], v[4:5]
	v_add_f64 v[6:7], v[6:7], -v[10:11]
	s_delay_alu instid0(VALU_DEP_4) | instskip(SKIP_1) | instid1(VALU_DEP_4)
	v_add_f64 v[2:3], v[2:3], v[10:11]
	v_add_f64 v[10:11], v[4:5], -v[8:9]
	v_add_f64 v[0:1], v[0:1], v[8:9]
	s_delay_alu instid0(VALU_DEP_4) | instskip(SKIP_1) | instid1(VALU_DEP_4)
	v_fma_f64 v[4:5], v[6:7], s[8:9], v[12:13]
	v_fma_f64 v[8:9], v[6:7], s[2:3], v[12:13]
	;; [unrolled: 1-line block ×4, first 2 shown]
	ds_load_b128 v[12:15], v218 offset:3888
	s_waitcnt lgkmcnt(0)
	v_fma_f64 v[26:27], v[26:27], -0.5, v[14:15]
	v_add_f64 v[14:15], v[14:15], v[18:19]
	v_fma_f64 v[24:25], v[24:25], -0.5, v[12:13]
	v_add_f64 v[12:13], v[12:13], v[16:17]
	v_add_f64 v[18:19], v[18:19], -v[22:23]
	s_delay_alu instid0(VALU_DEP_4) | instskip(SKIP_1) | instid1(VALU_DEP_4)
	v_add_f64 v[14:15], v[14:15], v[22:23]
	v_add_f64 v[22:23], v[16:17], -v[20:21]
	v_add_f64 v[12:13], v[12:13], v[20:21]
	s_delay_alu instid0(VALU_DEP_4) | instskip(SKIP_1) | instid1(VALU_DEP_4)
	v_fma_f64 v[16:17], v[18:19], s[8:9], v[24:25]
	v_fma_f64 v[20:21], v[18:19], s[2:3], v[24:25]
	;; [unrolled: 1-line block ×4, first 2 shown]
	ds_load_b128 v[24:27], v218 offset:11664
	ds_load_b128 v[28:31], v218 offset:7776
	s_waitcnt lgkmcnt(0)
	s_barrier
	buffer_gl0_inv
	ds_store_b128 v218, v[0:3]
	ds_store_b128 v218, v[4:7] offset:5184
	ds_store_b128 v218, v[8:11] offset:10368
	ds_store_b128 v235, v[12:15]
	ds_store_b128 v235, v[16:19] offset:5184
	ds_store_b128 v235, v[20:23] offset:10368
	v_add_f64 v[0:1], v[32:33], v[48:49]
	v_add_f64 v[4:5], v[28:29], v[32:33]
	v_add_f64 v[8:9], v[34:35], -v[50:51]
	v_add_f64 v[12:13], v[32:33], -v[48:49]
	s_delay_alu instid0(VALU_DEP_4) | instskip(SKIP_1) | instid1(VALU_DEP_1)
	v_fma_f64 v[6:7], v[0:1], -0.5, v[28:29]
	v_add_f64 v[0:1], v[34:35], v[50:51]
	v_fma_f64 v[10:11], v[0:1], -0.5, v[30:31]
	v_add_f64 v[0:1], v[30:31], v[34:35]
	s_delay_alu instid0(VALU_DEP_1)
	v_add_f64 v[2:3], v[0:1], v[50:51]
	v_add_f64 v[0:1], v[4:5], v[48:49]
	v_fma_f64 v[4:5], v[8:9], s[8:9], v[6:7]
	v_fma_f64 v[8:9], v[8:9], s[2:3], v[6:7]
	v_fma_f64 v[6:7], v[12:13], s[2:3], v[10:11]
	v_fma_f64 v[10:11], v[12:13], s[8:9], v[10:11]
	ds_store_b128 v234, v[0:3]
	ds_store_b128 v234, v[4:7] offset:5184
	ds_store_b128 v234, v[8:11] offset:10368
	v_add_f64 v[0:1], v[52:53], v[56:57]
	v_add_f64 v[4:5], v[24:25], v[52:53]
	v_add_f64 v[8:9], v[54:55], -v[58:59]
	v_add_f64 v[12:13], v[52:53], -v[56:57]
	s_delay_alu instid0(VALU_DEP_4) | instskip(SKIP_1) | instid1(VALU_DEP_1)
	v_fma_f64 v[6:7], v[0:1], -0.5, v[24:25]
	v_add_f64 v[0:1], v[54:55], v[58:59]
	v_fma_f64 v[10:11], v[0:1], -0.5, v[26:27]
	v_add_f64 v[0:1], v[26:27], v[54:55]
	s_delay_alu instid0(VALU_DEP_1)
	v_add_f64 v[2:3], v[0:1], v[58:59]
	v_add_f64 v[0:1], v[4:5], v[56:57]
	v_fma_f64 v[4:5], v[8:9], s[8:9], v[6:7]
	v_fma_f64 v[8:9], v[8:9], s[2:3], v[6:7]
	;; [unrolled: 1-line block ×4, first 2 shown]
	ds_store_b128 v233, v[0:3] offset:31104
	ds_store_b128 v233, v[4:7] offset:36288
	;; [unrolled: 1-line block ×3, first 2 shown]
	s_waitcnt lgkmcnt(0)
	s_barrier
	buffer_gl0_inv
	ds_load_b128 v[0:3], v218 offset:19440
	s_waitcnt lgkmcnt(0)
	v_mul_f64 v[4:5], v[194:195], v[2:3]
	s_delay_alu instid0(VALU_DEP_1) | instskip(SKIP_1) | instid1(VALU_DEP_1)
	v_fma_f64 v[4:5], v[192:193], v[0:1], v[4:5]
	v_mul_f64 v[0:1], v[194:195], v[0:1]
	v_fma_f64 v[6:7], v[192:193], v[2:3], -v[0:1]
	ds_load_b128 v[0:3], v218 offset:34992
	s_waitcnt lgkmcnt(0)
	v_mul_f64 v[8:9], v[198:199], v[2:3]
	s_delay_alu instid0(VALU_DEP_1) | instskip(SKIP_1) | instid1(VALU_DEP_1)
	v_fma_f64 v[8:9], v[196:197], v[0:1], v[8:9]
	v_mul_f64 v[0:1], v[198:199], v[0:1]
	v_fma_f64 v[10:11], v[196:197], v[2:3], -v[0:1]
	ds_load_b128 v[0:3], v218 offset:23328
	s_waitcnt lgkmcnt(0)
	v_mul_f64 v[12:13], v[202:203], v[2:3]
	v_add_f64 v[14:15], v[6:7], v[10:11]
	s_delay_alu instid0(VALU_DEP_2) | instskip(SKIP_1) | instid1(VALU_DEP_1)
	v_fma_f64 v[16:17], v[200:201], v[0:1], v[12:13]
	v_mul_f64 v[0:1], v[202:203], v[0:1]
	v_fma_f64 v[18:19], v[200:201], v[2:3], -v[0:1]
	ds_load_b128 v[0:3], v218 offset:38880
	s_waitcnt lgkmcnt(0)
	v_mul_f64 v[12:13], v[206:207], v[2:3]
	s_delay_alu instid0(VALU_DEP_1) | instskip(SKIP_1) | instid1(VALU_DEP_2)
	v_fma_f64 v[20:21], v[204:205], v[0:1], v[12:13]
	v_mul_f64 v[0:1], v[206:207], v[0:1]
	v_add_f64 v[24:25], v[16:17], v[20:21]
	s_delay_alu instid0(VALU_DEP_2)
	v_fma_f64 v[22:23], v[204:205], v[2:3], -v[0:1]
	ds_load_b128 v[0:3], v218 offset:15552
	s_waitcnt lgkmcnt(0)
	v_mul_f64 v[12:13], v[158:159], v[2:3]
	v_add_f64 v[26:27], v[18:19], v[22:23]
	v_add_f64 v[48:49], v[18:19], -v[22:23]
	s_delay_alu instid0(VALU_DEP_3) | instskip(SKIP_1) | instid1(VALU_DEP_1)
	v_fma_f64 v[28:29], v[156:157], v[0:1], v[12:13]
	v_mul_f64 v[0:1], v[158:159], v[0:1]
	v_fma_f64 v[30:31], v[156:157], v[2:3], -v[0:1]
	ds_load_b128 v[0:3], v218 offset:31104
	s_waitcnt lgkmcnt(0)
	v_mul_f64 v[12:13], v[182:183], v[2:3]
	s_delay_alu instid0(VALU_DEP_1) | instskip(SKIP_1) | instid1(VALU_DEP_1)
	v_fma_f64 v[32:33], v[180:181], v[0:1], v[12:13]
	v_mul_f64 v[0:1], v[182:183], v[0:1]
	v_fma_f64 v[34:35], v[180:181], v[2:3], -v[0:1]
	ds_load_b128 v[0:3], v218 offset:27216
	s_waitcnt lgkmcnt(0)
	v_mul_f64 v[12:13], v[210:211], v[2:3]
	v_add_f64 v[50:51], v[30:31], v[34:35]
	s_delay_alu instid0(VALU_DEP_2) | instskip(SKIP_1) | instid1(VALU_DEP_1)
	v_fma_f64 v[52:53], v[208:209], v[0:1], v[12:13]
	v_mul_f64 v[0:1], v[210:211], v[0:1]
	v_fma_f64 v[54:55], v[208:209], v[2:3], -v[0:1]
	ds_load_b128 v[0:3], v218 offset:42768
	s_waitcnt lgkmcnt(0)
	v_mul_f64 v[12:13], v[214:215], v[2:3]
	s_delay_alu instid0(VALU_DEP_1) | instskip(SKIP_2) | instid1(VALU_DEP_3)
	v_fma_f64 v[56:57], v[212:213], v[0:1], v[12:13]
	v_mul_f64 v[0:1], v[214:215], v[0:1]
	v_add_f64 v[12:13], v[4:5], v[8:9]
	v_add_f64 v[60:61], v[52:53], v[56:57]
	s_delay_alu instid0(VALU_DEP_3)
	v_fma_f64 v[58:59], v[212:213], v[2:3], -v[0:1]
	ds_load_b128 v[0:3], v218 offset:3888
	s_waitcnt lgkmcnt(0)
	v_fma_f64 v[14:15], v[14:15], -0.5, v[2:3]
	v_add_f64 v[2:3], v[2:3], v[6:7]
	v_fma_f64 v[12:13], v[12:13], -0.5, v[0:1]
	v_add_f64 v[0:1], v[0:1], v[4:5]
	v_add_f64 v[6:7], v[6:7], -v[10:11]
	v_add_f64 v[62:63], v[54:55], v[58:59]
	v_add_f64 v[64:65], v[54:55], -v[58:59]
	;; [unrolled: 2-line block ×3, first 2 shown]
	v_add_f64 v[0:1], v[0:1], v[8:9]
	v_fma_f64 v[4:5], v[6:7], s[8:9], v[12:13]
	v_fma_f64 v[8:9], v[6:7], s[2:3], v[12:13]
	s_delay_alu instid0(VALU_DEP_4)
	v_fma_f64 v[6:7], v[10:11], s[2:3], v[14:15]
	v_fma_f64 v[10:11], v[10:11], s[8:9], v[14:15]
	ds_load_b128 v[12:15], v218 offset:7776
	s_waitcnt lgkmcnt(0)
	v_fma_f64 v[26:27], v[26:27], -0.5, v[14:15]
	v_add_f64 v[14:15], v[14:15], v[18:19]
	v_fma_f64 v[24:25], v[24:25], -0.5, v[12:13]
	v_add_f64 v[12:13], v[12:13], v[16:17]
	s_delay_alu instid0(VALU_DEP_3) | instskip(SKIP_1) | instid1(VALU_DEP_3)
	v_add_f64 v[14:15], v[14:15], v[22:23]
	v_add_f64 v[22:23], v[16:17], -v[20:21]
	v_add_f64 v[12:13], v[12:13], v[20:21]
	v_fma_f64 v[16:17], v[48:49], s[8:9], v[24:25]
	v_fma_f64 v[20:21], v[48:49], s[2:3], v[24:25]
	v_add_f64 v[48:49], v[28:29], v[32:33]
	v_fma_f64 v[18:19], v[22:23], s[2:3], v[26:27]
	v_fma_f64 v[22:23], v[22:23], s[8:9], v[26:27]
	ds_load_b128 v[24:27], v218
	s_waitcnt lgkmcnt(0)
	v_fma_f64 v[50:51], v[50:51], -0.5, v[26:27]
	v_add_f64 v[26:27], v[26:27], v[30:31]
	v_fma_f64 v[48:49], v[48:49], -0.5, v[24:25]
	v_add_f64 v[24:25], v[24:25], v[28:29]
	v_add_f64 v[30:31], v[30:31], -v[34:35]
	s_delay_alu instid0(VALU_DEP_4) | instskip(SKIP_1) | instid1(VALU_DEP_4)
	v_add_f64 v[26:27], v[26:27], v[34:35]
	v_add_f64 v[34:35], v[28:29], -v[32:33]
	v_add_f64 v[24:25], v[24:25], v[32:33]
	s_delay_alu instid0(VALU_DEP_4) | instskip(SKIP_1) | instid1(VALU_DEP_4)
	v_fma_f64 v[28:29], v[30:31], s[8:9], v[48:49]
	v_fma_f64 v[32:33], v[30:31], s[2:3], v[48:49]
	;; [unrolled: 1-line block ×4, first 2 shown]
	ds_load_b128 v[48:51], v218 offset:11664
	s_waitcnt lgkmcnt(0)
	v_fma_f64 v[62:63], v[62:63], -0.5, v[50:51]
	v_add_f64 v[50:51], v[50:51], v[54:55]
	v_fma_f64 v[60:61], v[60:61], -0.5, v[48:49]
	v_add_f64 v[48:49], v[48:49], v[52:53]
	s_delay_alu instid0(VALU_DEP_3) | instskip(SKIP_1) | instid1(VALU_DEP_3)
	v_add_f64 v[50:51], v[50:51], v[58:59]
	v_add_f64 v[58:59], v[52:53], -v[56:57]
	v_add_f64 v[48:49], v[48:49], v[56:57]
	v_fma_f64 v[52:53], v[64:65], s[8:9], v[60:61]
	v_fma_f64 v[56:57], v[64:65], s[2:3], v[60:61]
	s_delay_alu instid0(VALU_DEP_4)
	v_fma_f64 v[54:55], v[58:59], s[2:3], v[62:63]
	v_fma_f64 v[58:59], v[58:59], s[8:9], v[62:63]
	ds_store_b128 v218, v[0:3] offset:3888
	ds_store_b128 v218, v[12:15] offset:7776
	;; [unrolled: 1-line block ×3, first 2 shown]
	ds_store_b128 v218, v[24:27]
	ds_store_b128 v218, v[4:7] offset:19440
	ds_store_b128 v218, v[16:19] offset:23328
	;; [unrolled: 1-line block ×8, first 2 shown]
	s_waitcnt lgkmcnt(0)
	s_barrier
	buffer_gl0_inv
	s_clause 0x5
	scratch_load_b128 v[6:9], off, off offset:120
	scratch_load_b128 v[34:37], off, off offset:104
	;; [unrolled: 1-line block ×6, first 2 shown]
	ds_load_b128 v[0:3], v218
	s_clause 0x1
	scratch_load_b128 v[26:29], off, off offset:72
	scratch_load_b128 v[30:33], off, off offset:88
	s_mul_i32 s2, s5, 0x1e60
	s_mul_hi_u32 s3, s4, 0x1e60
	scratch_load_b32 v54, off, off offset:136 ; 4-byte Folded Reload
	s_add_i32 s3, s3, s2
	s_waitcnt vmcnt(8) lgkmcnt(0)
	v_mul_f64 v[4:5], v[8:9], v[2:3]
	s_delay_alu instid0(VALU_DEP_1) | instskip(SKIP_1) | instid1(VALU_DEP_1)
	v_fma_f64 v[4:5], v[6:7], v[0:1], v[4:5]
	v_mul_f64 v[0:1], v[8:9], v[0:1]
	v_fma_f64 v[6:7], v[6:7], v[2:3], -v[0:1]
	ds_load_b128 v[0:3], v218 offset:7776
	s_waitcnt vmcnt(6) lgkmcnt(0)
	v_mul_f64 v[8:9], v[12:13], v[2:3]
	s_delay_alu instid0(VALU_DEP_1) | instskip(SKIP_1) | instid1(VALU_DEP_1)
	v_fma_f64 v[8:9], v[10:11], v[0:1], v[8:9]
	v_mul_f64 v[0:1], v[12:13], v[0:1]
	v_fma_f64 v[10:11], v[10:11], v[2:3], -v[0:1]
	ds_load_b128 v[0:3], v218 offset:15552
	;; [unrolled: 7-line block ×7, first 2 shown]
	s_waitcnt lgkmcnt(0)
	v_mul_f64 v[32:33], v[36:37], v[2:3]
	s_delay_alu instid0(VALU_DEP_1) | instskip(SKIP_1) | instid1(VALU_DEP_1)
	v_fma_f64 v[32:33], v[34:35], v[0:1], v[32:33]
	v_mul_f64 v[0:1], v[36:37], v[0:1]
	v_fma_f64 v[34:35], v[34:35], v[2:3], -v[0:1]
	ds_load_b128 v[0:3], v218 offset:19440
	s_waitcnt lgkmcnt(0)
	v_mul_f64 v[48:49], v[231:232], v[2:3]
	s_delay_alu instid0(VALU_DEP_1) | instskip(SKIP_1) | instid1(VALU_DEP_1)
	v_fma_f64 v[48:49], v[229:230], v[0:1], v[48:49]
	v_mul_f64 v[0:1], v[231:232], v[0:1]
	v_fma_f64 v[50:51], v[229:230], v[2:3], -v[0:1]
	ds_load_b128 v[0:3], v218 offset:27216
	;; [unrolled: 7-line block ×4, first 2 shown]
	s_waitcnt lgkmcnt(0)
	v_mul_f64 v[42:43], v[46:47], v[2:3]
	s_delay_alu instid0(VALU_DEP_1)
	v_fma_f64 v[42:43], v[44:45], v[0:1], v[42:43]
	v_mul_f64 v[0:1], v[46:47], v[0:1]
	scratch_load_b64 v[46:47], off, off     ; 8-byte Folded Reload
	v_fma_f64 v[44:45], v[44:45], v[2:3], -v[0:1]
	s_waitcnt vmcnt(0)
	v_mad_u64_u32 v[0:1], null, s6, v46, 0
	s_mul_i32 s6, s4, 0x1e60
	s_delay_alu instid0(VALU_DEP_1) | instskip(NEXT) | instid1(VALU_DEP_1)
	v_mad_u64_u32 v[2:3], null, s7, v46, v[1:2]
	v_mov_b32_e32 v1, v2
	v_mad_u64_u32 v[2:3], null, s4, v54, 0
	s_delay_alu instid0(VALU_DEP_2) | instskip(NEXT) | instid1(VALU_DEP_2)
	v_lshlrev_b64 v[0:1], 4, v[0:1]
	v_mad_u64_u32 v[46:47], null, s5, v54, v[3:4]
	s_delay_alu instid0(VALU_DEP_1) | instskip(NEXT) | instid1(VALU_DEP_3)
	v_mov_b32_e32 v3, v46
	v_add_co_u32 v46, vcc_lo, s0, v0
	s_delay_alu instid0(VALU_DEP_4) | instskip(NEXT) | instid1(VALU_DEP_3)
	v_add_co_ci_u32_e32 v47, vcc_lo, s1, v1, vcc_lo
	v_lshlrev_b64 v[0:1], 4, v[2:3]
	s_mov_b32 s0, 0xe0bf08c7
	s_mov_b32 s1, 0x3f367980
	s_delay_alu instid0(SALU_CYCLE_1) | instskip(SKIP_1) | instid1(VALU_DEP_3)
	v_mul_f64 v[2:3], v[6:7], s[0:1]
	v_mul_f64 v[6:7], v[26:27], s[0:1]
	v_add_co_u32 v46, vcc_lo, v46, v0
	v_add_co_ci_u32_e32 v47, vcc_lo, v47, v1, vcc_lo
	v_mul_f64 v[0:1], v[4:5], s[0:1]
	s_delay_alu instid0(VALU_DEP_3) | instskip(NEXT) | instid1(VALU_DEP_3)
	v_add_co_u32 v4, vcc_lo, v46, s6
	v_add_co_ci_u32_e32 v5, vcc_lo, s3, v47, vcc_lo
	v_mul_f64 v[26:27], v[44:45], s[0:1]
	global_store_b128 v[46:47], v[0:3], off
	v_mul_f64 v[0:1], v[8:9], s[0:1]
	v_mul_f64 v[2:3], v[10:11], s[0:1]
	;; [unrolled: 1-line block ×3, first 2 shown]
	global_store_b128 v[4:5], v[0:3], off
	v_mul_f64 v[0:1], v[12:13], s[0:1]
	v_mul_f64 v[2:3], v[14:15], s[0:1]
	v_add_co_u32 v4, vcc_lo, v4, s6
	v_add_co_ci_u32_e32 v5, vcc_lo, s3, v5, vcc_lo
	v_mul_f64 v[12:13], v[48:49], s[0:1]
	v_mul_f64 v[14:15], v[50:51], s[0:1]
	global_store_b128 v[4:5], v[0:3], off
	v_mul_f64 v[0:1], v[16:17], s[0:1]
	v_mul_f64 v[2:3], v[18:19], s[0:1]
	v_add_co_u32 v4, vcc_lo, v4, s6
	v_add_co_ci_u32_e32 v5, vcc_lo, s3, v5, vcc_lo
	v_mul_f64 v[16:17], v[52:53], s[0:1]
	s_delay_alu instid0(VALU_DEP_3) | instskip(NEXT) | instid1(VALU_DEP_3)
	v_add_co_u32 v8, vcc_lo, v4, s6
	v_add_co_ci_u32_e32 v9, vcc_lo, s3, v5, vcc_lo
	v_mul_f64 v[18:19], v[36:37], s[0:1]
	s_delay_alu instid0(VALU_DEP_3) | instskip(NEXT) | instid1(VALU_DEP_3)
	v_add_co_u32 v46, vcc_lo, v8, s6
	v_add_co_ci_u32_e32 v47, vcc_lo, s3, v9, vcc_lo
	s_delay_alu instid0(VALU_DEP_1)
	v_mad_u64_u32 v[54:55], null, 0xffff7750, s4, v[46:47]
	global_store_b128 v[4:5], v[0:3], off
	v_mul_f64 v[0:1], v[20:21], s[0:1]
	v_mul_f64 v[2:3], v[22:23], s[0:1]
	;; [unrolled: 1-line block ×6, first 2 shown]
	global_store_b128 v[8:9], v[0:3], off
	v_mul_f64 v[0:1], v[28:29], s[0:1]
	v_mul_f64 v[2:3], v[30:31], s[0:1]
	;; [unrolled: 1-line block ×3, first 2 shown]
	s_mul_i32 s0, s5, 0xffff7750
	v_add_co_u32 v28, vcc_lo, v54, s6
	s_sub_i32 s0, s0, s4
	global_store_b128 v[46:47], v[4:7], off
	v_add_nc_u32_e32 v55, s0, v55
	s_delay_alu instid0(VALU_DEP_1) | instskip(SKIP_1) | instid1(VALU_DEP_2)
	v_add_co_ci_u32_e32 v29, vcc_lo, s3, v55, vcc_lo
	v_add_co_u32 v30, vcc_lo, v28, s6
	v_add_co_ci_u32_e32 v31, vcc_lo, s3, v29, vcc_lo
	s_delay_alu instid0(VALU_DEP_2) | instskip(NEXT) | instid1(VALU_DEP_2)
	v_add_co_u32 v4, vcc_lo, v30, s6
	v_add_co_ci_u32_e32 v5, vcc_lo, s3, v31, vcc_lo
	s_delay_alu instid0(VALU_DEP_2) | instskip(NEXT) | instid1(VALU_DEP_2)
	;; [unrolled: 3-line block ×3, first 2 shown]
	v_add_co_u32 v32, vcc_lo, v6, s6
	v_add_co_ci_u32_e32 v33, vcc_lo, s3, v7, vcc_lo
	global_store_b128 v[54:55], v[0:3], off
	global_store_b128 v[28:29], v[8:11], off
	;; [unrolled: 1-line block ×6, first 2 shown]
.LBB0_2:
	s_nop 0
	s_sendmsg sendmsg(MSG_DEALLOC_VGPRS)
	s_endpgm
	.section	.rodata,"a",@progbits
	.p2align	6, 0x0
	.amdhsa_kernel bluestein_single_fwd_len2916_dim1_dp_op_CI_CI
		.amdhsa_group_segment_fixed_size 46656
		.amdhsa_private_segment_fixed_size 160
		.amdhsa_kernarg_size 104
		.amdhsa_user_sgpr_count 15
		.amdhsa_user_sgpr_dispatch_ptr 0
		.amdhsa_user_sgpr_queue_ptr 0
		.amdhsa_user_sgpr_kernarg_segment_ptr 1
		.amdhsa_user_sgpr_dispatch_id 0
		.amdhsa_user_sgpr_private_segment_size 0
		.amdhsa_wavefront_size32 1
		.amdhsa_uses_dynamic_stack 0
		.amdhsa_enable_private_segment 1
		.amdhsa_system_sgpr_workgroup_id_x 1
		.amdhsa_system_sgpr_workgroup_id_y 0
		.amdhsa_system_sgpr_workgroup_id_z 0
		.amdhsa_system_sgpr_workgroup_info 0
		.amdhsa_system_vgpr_workitem_id 0
		.amdhsa_next_free_vgpr 256
		.amdhsa_next_free_sgpr 20
		.amdhsa_reserve_vcc 1
		.amdhsa_float_round_mode_32 0
		.amdhsa_float_round_mode_16_64 0
		.amdhsa_float_denorm_mode_32 3
		.amdhsa_float_denorm_mode_16_64 3
		.amdhsa_dx10_clamp 1
		.amdhsa_ieee_mode 1
		.amdhsa_fp16_overflow 0
		.amdhsa_workgroup_processor_mode 1
		.amdhsa_memory_ordered 1
		.amdhsa_forward_progress 0
		.amdhsa_shared_vgpr_count 0
		.amdhsa_exception_fp_ieee_invalid_op 0
		.amdhsa_exception_fp_denorm_src 0
		.amdhsa_exception_fp_ieee_div_zero 0
		.amdhsa_exception_fp_ieee_overflow 0
		.amdhsa_exception_fp_ieee_underflow 0
		.amdhsa_exception_fp_ieee_inexact 0
		.amdhsa_exception_int_div_zero 0
	.end_amdhsa_kernel
	.text
.Lfunc_end0:
	.size	bluestein_single_fwd_len2916_dim1_dp_op_CI_CI, .Lfunc_end0-bluestein_single_fwd_len2916_dim1_dp_op_CI_CI
                                        ; -- End function
	.section	.AMDGPU.csdata,"",@progbits
; Kernel info:
; codeLenInByte = 19116
; NumSgprs: 22
; NumVgprs: 256
; ScratchSize: 160
; MemoryBound: 0
; FloatMode: 240
; IeeeMode: 1
; LDSByteSize: 46656 bytes/workgroup (compile time only)
; SGPRBlocks: 2
; VGPRBlocks: 31
; NumSGPRsForWavesPerEU: 22
; NumVGPRsForWavesPerEU: 256
; Occupancy: 4
; WaveLimiterHint : 1
; COMPUTE_PGM_RSRC2:SCRATCH_EN: 1
; COMPUTE_PGM_RSRC2:USER_SGPR: 15
; COMPUTE_PGM_RSRC2:TRAP_HANDLER: 0
; COMPUTE_PGM_RSRC2:TGID_X_EN: 1
; COMPUTE_PGM_RSRC2:TGID_Y_EN: 0
; COMPUTE_PGM_RSRC2:TGID_Z_EN: 0
; COMPUTE_PGM_RSRC2:TIDIG_COMP_CNT: 0
	.text
	.p2alignl 7, 3214868480
	.fill 96, 4, 3214868480
	.type	__hip_cuid_935eac8fe997bc36,@object ; @__hip_cuid_935eac8fe997bc36
	.section	.bss,"aw",@nobits
	.globl	__hip_cuid_935eac8fe997bc36
__hip_cuid_935eac8fe997bc36:
	.byte	0                               ; 0x0
	.size	__hip_cuid_935eac8fe997bc36, 1

	.ident	"AMD clang version 19.0.0git (https://github.com/RadeonOpenCompute/llvm-project roc-6.4.0 25133 c7fe45cf4b819c5991fe208aaa96edf142730f1d)"
	.section	".note.GNU-stack","",@progbits
	.addrsig
	.addrsig_sym __hip_cuid_935eac8fe997bc36
	.amdgpu_metadata
---
amdhsa.kernels:
  - .args:
      - .actual_access:  read_only
        .address_space:  global
        .offset:         0
        .size:           8
        .value_kind:     global_buffer
      - .actual_access:  read_only
        .address_space:  global
        .offset:         8
        .size:           8
        .value_kind:     global_buffer
      - .actual_access:  read_only
        .address_space:  global
        .offset:         16
        .size:           8
        .value_kind:     global_buffer
      - .actual_access:  read_only
        .address_space:  global
        .offset:         24
        .size:           8
        .value_kind:     global_buffer
      - .actual_access:  read_only
        .address_space:  global
        .offset:         32
        .size:           8
        .value_kind:     global_buffer
      - .offset:         40
        .size:           8
        .value_kind:     by_value
      - .address_space:  global
        .offset:         48
        .size:           8
        .value_kind:     global_buffer
      - .address_space:  global
        .offset:         56
        .size:           8
        .value_kind:     global_buffer
      - .address_space:  global
        .offset:         64
        .size:           8
        .value_kind:     global_buffer
      - .address_space:  global
        .offset:         72
        .size:           8
        .value_kind:     global_buffer
      - .offset:         80
        .size:           4
        .value_kind:     by_value
      - .address_space:  global
        .offset:         88
        .size:           8
        .value_kind:     global_buffer
      - .address_space:  global
        .offset:         96
        .size:           8
        .value_kind:     global_buffer
    .group_segment_fixed_size: 46656
    .kernarg_segment_align: 8
    .kernarg_segment_size: 104
    .language:       OpenCL C
    .language_version:
      - 2
      - 0
    .max_flat_workgroup_size: 243
    .name:           bluestein_single_fwd_len2916_dim1_dp_op_CI_CI
    .private_segment_fixed_size: 160
    .sgpr_count:     22
    .sgpr_spill_count: 0
    .symbol:         bluestein_single_fwd_len2916_dim1_dp_op_CI_CI.kd
    .uniform_work_group_size: 1
    .uses_dynamic_stack: false
    .vgpr_count:     256
    .vgpr_spill_count: 39
    .wavefront_size: 32
    .workgroup_processor_mode: 1
amdhsa.target:   amdgcn-amd-amdhsa--gfx1100
amdhsa.version:
  - 1
  - 2
...

	.end_amdgpu_metadata
